;; amdgpu-corpus repo=ROCm/aiter kind=harvested arch=n/a opt=n/a

/root/src/amdgpu-assembly/repos/ROCm__aiter/hsa/gfx950/mla/mla_a8w8_qh16_qseqlen2_gqaratio16_ps.co:	file format elf64-amdgpu

Disassembly of section .text:

0000000000002300 <_ZN5aiter36mla_a8w8_qh16_qseqlen2_gqaratio16_psE>:
	s_and_b32 s1, s1, 0xffff                                   // 000000002300: 8601FF01 0000FFFF
	s_load_dwordx2 s[28:29], s[0:1], 0xe0                      // 000000002308: C0060700 000000E0
	v_lshrrev_b32_e32 v1, 10, v0                               // 000000002310: 2002008A
	v_lshrrev_b32_e32 v2, 10, v1                               // 000000002314: 2004028A
	v_and_b32_e32 v2, 0x3ff, v2                                // 000000002318: 260404FF 000003FF
	v_and_b32_e32 v1, 0x3ff, v1                                // 000000002320: 260202FF 000003FF
	v_and_b32_e32 v0, 0x3ff, v0                                // 000000002328: 260000FF 000003FF
	v_lshrrev_b32_e32 v3, 6, v0                                // 000000002330: 20060086
	v_and_b32_e32 v0, 63, v0                                   // 000000002334: 260000BF
	s_mov_b32 s2, s2                                           // 000000002338: BE820002
	s_mov_b32 s3, s3                                           // 00000000233C: BE830003
	s_mov_b32 s4, s4                                           // 000000002340: BE840004
	v_readfirstlane_b32 s7, v3                                 // 000000002344: 7E0E0503
	s_waitcnt lgkmcnt(0)                                       // 000000002348: BF8CC07F
	s_and_b32 s29, s29, 0xffff                                 // 00000000234C: 861DFF1D 0000FFFF
	s_load_dwordx2 s[32:33], s[28:29], 0x0                     // 000000002354: C006080E 00000000
	s_load_dwordx2 s[30:31], s[28:29], 0x8                     // 00000000235C: C006078E 00000008
	s_waitcnt lgkmcnt(0)                                       // 000000002364: BF8CC07F
	s_mul_i32 s56, s2, 4                                       // 000000002368: 92388402
	s_and_b32 s33, s33, 0xffff                                 // 00000000236C: 8621FF21 0000FFFF
	s_add_u32 s32, s56, s32                                    // 000000002374: 80202038
	s_addc_u32 s33, 0, s33                                     // 000000002378: 82212180
	s_load_dword s85, s[32:33], 0x0                            // 00000000237C: C0021550 00000000
	s_load_dword s86, s[32:33], 0x4                            // 000000002384: C0021590 00000004
	s_and_b32 s31, s31, 0xffff                                 // 00000000238C: 861FFF1F 0000FFFF
	s_waitcnt lgkmcnt(0)                                       // 000000002394: BF8CC07F
	s_cmp_eq_i32 s85, s86                                      // 000000002398: BF005655
	s_cbranch_scc1 label_1DD4                                  // 00000000239C: BF851D69
	s_mul_i32 s56, s85, 32                                     // 0000000023A0: 9238A055

00000000000023a4 <label_0029>:
	s_waitcnt vmcnt(0) expcnt(0) lgkmcnt(0)                    // 0000000023A4: BF8C0000
	s_barrier                                                  // 0000000023A8: BF8A0000
	s_add_u32 s30, s56, s30                                    // 0000000023AC: 801E1E38
	s_addc_u32 s31, 0, s31                                     // 0000000023B0: 821F1F80
	s_load_dword s87, s[30:31], 0x4                            // 0000000023B4: C00215CF 00000004
	s_load_dword s78, s[30:31], 0x8                            // 0000000023BC: C002138F 00000008
	s_load_dword s79, s[30:31], 0xc                            // 0000000023C4: C00213CF 0000000C
	s_load_dword s46, s[30:31], 0x10                           // 0000000023CC: C0020B8F 00000010
	s_load_dword s47, s[30:31], 0x14                           // 0000000023D4: C0020BCF 00000014
	s_load_dword s77, s[30:31], 0x18                           // 0000000023DC: C002134F 00000018
	s_load_dwordx2 s[8:9], s[0:1], 0x0                         // 0000000023E4: C0060200 00000000
	s_load_dwordx2 s[12:13], s[0:1], 0x10                      // 0000000023EC: C0060300 00000010
	s_load_dwordx2 s[16:17], s[0:1], 0x20                      // 0000000023F4: C0060400 00000020
	s_load_dwordx2 s[20:21], s[0:1], 0x30                      // 0000000023FC: C0060500 00000030
	s_load_dwordx2 s[24:25], s[0:1], 0x50                      // 000000002404: C0060600 00000050
	s_load_dword s64, s[0:1], 0x70                             // 00000000240C: C0021000 00000070
	s_load_dword s65, s[0:1], 0x80                             // 000000002414: C0021040 00000080
	s_load_dword s67, s[0:1], 0x90                             // 00000000241C: C00210C0 00000090
	s_load_dword s66, s[0:1], 0xa0                             // 000000002424: C0021080 000000A0
	s_load_dword s68, s[0:1], 0xb0                             // 00000000242C: C0021100 000000B0
	s_load_dword s69, s[0:1], 0xc0                             // 000000002434: C0021140 000000C0
	s_load_dwordx2 s[88:89], s[0:1], 0xf0                      // 00000000243C: C0061600 000000F0
	s_load_dwordx2 s[38:39], s[0:1], 0x100                     // 000000002444: C0060980 00000100
	s_load_dwordx2 s[40:41], s[0:1], 0x110                     // 00000000244C: C0060A00 00000110
	s_waitcnt lgkmcnt(0)                                       // 000000002454: BF8CC07F
	s_min_u32 s76, 16, s65                                     // 000000002458: 83CC4190
	s_mul_i32 s74, 0x240, s65                                  // 00000000245C: 924A41FF 00000240
	s_mul_i32 s56, 4, s65                                      // 000000002464: 92384184
	s_mov_b32 s18, s74                                         // 000000002468: BE92004A
	s_mov_b32 s14, s56                                         // 00000000246C: BE8E0038
	s_mov_b32 s22, -16                                         // 000000002470: BE9600D0
	s_mov_b32 s26, -16                                         // 000000002474: BE9A00D0
	s_mov_b32 s11, 0x20000                                     // 000000002478: BE8B00FF 00020000
	s_mov_b32 s91, 0x20000                                     // 000000002480: BEDB00FF 00020000
	s_mov_b32 s19, 0x20000                                     // 000000002488: BE9300FF 00020000
	s_mov_b32 s15, 0x20000                                     // 000000002490: BE8F00FF 00020000
	s_mov_b32 s23, 0x20000                                     // 000000002498: BE9700FF 00020000
	s_mov_b32 s27, 0x20000                                     // 0000000024A0: BE9B00FF 00020000
	s_and_b32 s9, s9, 0xffff                                   // 0000000024A8: 8609FF09 0000FFFF
	s_and_b32 s89, s89, 0xffff                                 // 0000000024B0: 8659FF59 0000FFFF
	s_and_b32 s17, s17, 0xffff                                 // 0000000024B8: 8611FF11 0000FFFF
	s_and_b32 s13, s13, 0xffff                                 // 0000000024C0: 860DFF0D 0000FFFF
	s_and_b32 s21, s21, 0xffff                                 // 0000000024C8: 8615FF15 0000FFFF
	s_and_b32 s25, s25, 0xffff                                 // 0000000024D0: 8619FF19 0000FFFF
	s_and_b32 s39, s39, 0xffff                                 // 0000000024D8: 8627FF27 0000FFFF
	s_and_b32 s41, s41, 0xffff                                 // 0000000024E0: 8629FF29 0000FFFF
	s_or_b32 s9, s9, 0x40000                                   // 0000000024E8: 8709FF09 00040000
	s_or_b32 s89, s89, 0x40000                                 // 0000000024F0: 8759FF59 00040000
	s_or_b32 s17, s17, 0x40000                                 // 0000000024F8: 8711FF11 00040000
	s_or_b32 s13, s13, 0x40000                                 // 000000002500: 870DFF0D 00040000
	s_or_b32 s21, s21, 0x40000                                 // 000000002508: 8715FF15 00040000
	s_or_b32 s25, s25, 0x40000                                 // 000000002510: 8719FF19 00040000
	s_mov_b32 s81, 2                                           // 000000002518: BED10082
	s_mov_b32 s67, 1                                           // 00000000251C: BEC30081
	s_mov_b32 s80, 0                                           // 000000002520: BED00080
	s_waitcnt lgkmcnt(0)                                       // 000000002524: BF8CC07F
	s_load_dword s42, s[38:39], 0x0                            // 000000002528: C0020A93 00000000
	s_load_dword s43, s[40:41], 0x0                            // 000000002530: C0020AD4 00000000
	s_mov_b32 s69, 0                                           // 000000002538: BEC50080
	s_lshr_b32 s44, 64, s69                                    // 00000000253C: 8F2C45C0
	s_mul_i32 s73, s44, 4                                      // 000000002540: 9249842C
	s_mul_i32 s73, s73, s67                                    // 000000002544: 92494349
	s_mul_i32 s45, s4, s44                                     // 000000002548: 922D2C04
	s_sub_u32 s50, s47, s46                                    // 00000000254C: 80B22E2F
	s_lshl_b32 s56, s50, s69                                   // 000000002550: 8E384532
	s_sub_u32 s82, s56, s81                                    // 000000002554: 80D25138
	s_mov_b32 s58, s77                                         // 000000002558: BEBA004D
	s_add_u32 s82, s82, s58                                    // 00000000255C: 80523A52
	s_add_u32 s57, s82, 8                                      // 000000002560: 80398852
	s_min_u32 s56, s56, s57                                    // 000000002564: 83B83938
	s_lshr_b32 s50, s56, s69                                   // 000000002568: 8F324538
	s_lshl_b32 s56, s45, s69                                   // 00000000256C: 8E38452D
	s_add_u32 s83, s56, 63                                     // 000000002570: 8053BF38
	s_mul_i32 s84, s67, 64                                     // 000000002574: 9254C043
	s_mul_i32 s58, 4, 16                                       // 000000002578: 923A9084
	s_mul_i32 s56, s87, s58                                    // 00000000257C: 92383A57
	s_add_u32 s12, s56, s12                                    // 000000002580: 800C0C38
	s_addc_u32 s13, 0, s13                                     // 000000002584: 820D0D80
	s_mul_i32 s56, s58, s81                                    // 000000002588: 9238513A
	s_mov_b32 s14, s56                                         // 00000000258C: BE8E0038
	v_and_b32_e32 v18, 15, v0                                  // 000000002590: 2624008F
	v_lshlrev_b32_e32 v18, 2, v18                              // 000000002594: 24242482
	s_cmp_le_u32 s50, s45                                      // 000000002598: BF0B2D32
	s_cbranch_scc1 label_1DD4                                  // 00000000259C: BF851CE9
	s_mul_i32 s56, s50, 4                                      // 0000000025A0: 92388432
	s_mov_b32 s26, s56                                         // 0000000025A4: BE9A0038
	s_mul_i32 s56, s46, 4                                      // 0000000025A8: 9238842E
	s_add_u32 s24, s56, s24                                    // 0000000025AC: 80181838
	s_addc_u32 s25, 0, s25                                     // 0000000025B0: 82191980
	s_mov_b32 s70, 0                                           // 0000000025B4: BEC60080
	s_sub_u32 s71, s50, s45                                    // 0000000025B8: 80C72D32
	s_mul_i32 s35, s67, s44                                    // 0000000025BC: 92232C43
	s_mov_b32 s34, s71                                         // 0000000025C0: BEA20047
	v_cvt_f32_u32_e32 v34, s35                                 // 0000000025C4: 7E440C23
	s_sub_i32 s56, 0, s35                                      // 0000000025C8: 81B82380
	v_rcp_iflag_f32_e32 v34, v34                               // 0000000025CC: 7E444722
	s_nop 0                                                    // 0000000025D0: BF800000
	v_mul_f32_e32 v34, 0x4f7ffffe, v34                         // 0000000025D4: 0A4444FF 4F7FFFFE
	v_cvt_u32_f32_e32 v34, v34                                 // 0000000025DC: 7E440F22
	v_mul_lo_u32 v35, s56, v34                                 // 0000000025E0: D2850023 00024438
	v_mul_hi_u32 v35, v34, v35                                 // 0000000025E8: D2860023 00024722
	v_add_u32_e32 v34, v34, v35                                // 0000000025F0: 68444722
	v_mul_hi_u32 v34, s34, v34                                 // 0000000025F4: D2860022 00024422
	v_mul_lo_u32 v35, v34, s35                                 // 0000000025FC: D2850023 00004722
	v_sub_u32_e32 v37, s34, v35                                // 000000002604: 6A4A4622
	v_add_u32_e32 v36, 1, v34                                  // 000000002608: 68484481
	v_cmp_le_u32_e32 vcc, s35, v37                             // 00000000260C: 7D964A23
	v_subrev_u32_e32 v35, s35, v37                             // 000000002610: 6C464A23
	s_nop 0                                                    // 000000002614: BF800000
	v_cndmask_b32_e32 v34, v34, v36, vcc                       // 000000002618: 00444922
	v_cndmask_b32_e32 v37, v37, v35, vcc                       // 00000000261C: 004A4725
	v_add_u32_e32 v35, 1, v34                                  // 000000002620: 68464481
	v_cmp_le_u32_e32 vcc, s35, v37                             // 000000002624: 7D964A23
	s_nop 1                                                    // 000000002628: BF800001
	v_cndmask_b32_e32 v37, v34, v35, vcc                       // 00000000262C: 004A4722
	s_nop 3                                                    // 000000002630: BF800003
	v_readfirstlane_b32 s36, v37                               // 000000002634: 7E480525
	s_nop 3                                                    // 000000002638: BF800003
	s_mov_b32 s71, s36                                         // 00000000263C: BEC70024
	s_mul_i32 s56, s71, s35                                    // 000000002640: 92382347
	s_sub_u32 s56, s34, s56                                    // 000000002644: 80B83822
	s_mov_b32 s57, 0                                           // 000000002648: BEB90080
	s_cmp_lt_u32 s56, s44                                      // 00000000264C: BF0A2C38
	s_cselect_b32 s57, s57, 1                                  // 000000002650: 85398139
	s_add_u32 s71, s57, s71                                    // 000000002654: 80474739
	s_cmpk_eq_u32 s57, 0x1                                     // 000000002658: B4390001
	s_cselect_b32 s49, 0, s56                                  // 00000000265C: 85313880
	s_mov_b32 s48, s49                                         // 000000002660: BEB00031
	v_lshrrev_b32_e32 v34, 3, v0                               // 000000002664: 20440083
	v_and_b32_e32 v35, 1, v34                                  // 000000002668: 26464481
	v_lshlrev_b32_e32 v28, 5, v35                              // 00000000266C: 24384685
	v_lshrrev_b32_e32 v34, 1, v34                              // 000000002670: 20444481
	v_lshlrev_b32_e32 v34, 3, v34                              // 000000002674: 24444483
	v_add_u32_e32 v28, v28, v34                                // 000000002678: 6838451C
	v_and_b32_e32 v34, 7, v0                                   // 00000000267C: 26440087
	v_add_u32_e32 v28, v28, v34                                // 000000002680: 6838451C
	v_add_u32_e32 v28, s45, v28                                // 000000002684: 6838382D
	v_lshlrev_b32_e32 v28, 2, v28                              // 000000002688: 24383882
	buffer_load_dword v26, v28, s[24:27], 0 offen              // 00000000268C: E0501000 80061A1C
	v_add_u32_e32 v28, s73, v28                                // 000000002694: 68383849
	buffer_load_dword v27, v28, s[24:27], 0 offen              // 000000002698: E0501000 80061B1C
	v_add_u32_e32 v28, s73, v28                                // 0000000026A0: 68383849
	s_mul_i32 s56, 0x240, 16                                   // 0000000026A4: 923890FF 00000240
	s_mul_i32 s56, s78, s56                                    // 0000000026AC: 9238384E
	s_add_u32 s16, s56, s16                                    // 0000000026B0: 80101038
	s_addc_u32 s17, 0, s17                                     // 0000000026B4: 82111180
	s_mul_i32 s56, s7, 0xc20                                   // 0000000026B8: 9238FF07 00000C20
	s_add_u32 m0, 0, s56                                       // 0000000026C0: 807C3880
	s_mul_i32 s56, s7, 0x240                                   // 0000000026C4: 9238FF07 00000240
	v_lshlrev_b32_e32 v34, 2, v0                               // 0000000026CC: 24440082
	v_add_u32_e64 v34, v34, s56                                // 0000000026D0: D1340022 00007122
	buffer_load_dword v34, s[16:19], 0 offen lds               // 0000000026D8: E0511000 80040022
	buffer_load_dword v34, s[16:19], 0 offen offset:256 lds    // 0000000026E0: E0511100 80040022
	buffer_load_dword v34, s[16:19], 0 offen offset:512 lds    // 0000000026E8: E0511200 80040022
	s_add_u32 m0, m0, 0x300                                    // 0000000026F0: 807CFF7C 00000300
	v_add_u32_e32 v34, 0x900, v34                              // 0000000026F8: 684444FF 00000900
	buffer_load_dword v34, s[16:19], 0 offen lds               // 000000002700: E0511000 80040022
	buffer_load_dword v34, s[16:19], 0 offen offset:256 lds    // 000000002708: E0511100 80040022
	buffer_load_dword v34, s[16:19], 0 offen offset:512 lds    // 000000002710: E0511200 80040022
	s_add_u32 m0, m0, 0x300                                    // 000000002718: 807CFF7C 00000300
	v_add_u32_e32 v34, 0x900, v34                              // 000000002720: 684444FF 00000900
	buffer_load_dword v34, s[16:19], 0 offen lds               // 000000002728: E0511000 80040022
	buffer_load_dword v34, s[16:19], 0 offen offset:256 lds    // 000000002730: E0511100 80040022
	buffer_load_dword v34, s[16:19], 0 offen offset:512 lds    // 000000002738: E0511200 80040022
	s_add_u32 m0, m0, 0x300                                    // 000000002740: 807CFF7C 00000300
	v_add_u32_e32 v34, 0x900, v34                              // 000000002748: 684444FF 00000900
	;; [unrolled: 5-line block ×3, first 2 shown]
	s_add_u32 m0, m0, 0x2400                                   // 000000002778: 807CFF7C 00002400
	buffer_load_dword v34, s[16:19], 0 offen lds               // 000000002780: E0511000 80040022
	buffer_load_dword v34, s[16:19], 0 offen offset:256 lds    // 000000002788: E0511100 80040022
	buffer_load_dword v34, s[16:19], 0 offen offset:512 lds    // 000000002790: E0511200 80040022
	s_add_u32 m0, m0, 0x300                                    // 000000002798: 807CFF7C 00000300
	v_add_u32_e32 v34, 0x900, v34                              // 0000000027A0: 684444FF 00000900
	buffer_load_dword v34, s[16:19], 0 offen lds               // 0000000027A8: E0511000 80040022
	buffer_load_dword v34, s[16:19], 0 offen offset:256 lds    // 0000000027B0: E0511100 80040022
	buffer_load_dword v34, s[16:19], 0 offen offset:512 lds    // 0000000027B8: E0511200 80040022
	s_add_u32 m0, m0, 0x300                                    // 0000000027C0: 807CFF7C 00000300
	v_add_u32_e32 v34, 0x900, v34                              // 0000000027C8: 684444FF 00000900
	buffer_load_dword v34, s[16:19], 0 offen lds               // 0000000027D0: E0511000 80040022
	buffer_load_dword v34, s[16:19], 0 offen offset:256 lds    // 0000000027D8: E0511100 80040022
	buffer_load_dword v34, s[16:19], 0 offen offset:512 lds    // 0000000027E0: E0511200 80040022
	s_add_u32 m0, m0, 0x300                                    // 0000000027E8: 807CFF7C 00000300
	v_add_u32_e32 v34, 0x900, v34                              // 0000000027F0: 684444FF 00000900
	buffer_load_dword v34, s[16:19], 0 offen lds               // 0000000027F8: E0511000 80040022
	buffer_load_dword v34, s[16:19], 0 offen offset:256 lds    // 000000002800: E0511100 80040022
	buffer_load_dword v34, s[16:19], 0 offen offset:512 lds    // 000000002808: E0511200 80040022
	s_add_u32 m0, m0, 0x300                                    // 000000002810: 807CFF7C 00000300
	v_add_u32_e32 v34, 0x900, v34                              // 000000002818: 684444FF 00000900
	s_add_u32 m0, m0, 0x2400                                   // 000000002820: 807CFF7C 00002400
	v_mov_b32_e32 v10, s68                                     // 000000002828: 7E140244
	s_mov_b32 s52, 0x7060302                                   // 00000000282C: BEB400FF 07060302
	s_mov_b32 s53, 0x5040100                                   // 000000002834: BEB500FF 05040100
	s_mov_b32 s54, 0x5010400                                   // 00000000283C: BEB600FF 05010400
	s_mov_b32 s55, 0x7030602                                   // 000000002844: BEB700FF 07030602
	s_mul_i32 s51, s7, 4                                       // 00000000284C: 92338407
	s_mov_b32 s6, 0x3fb8aa3b                                   // 000000002850: BE8600FF 3FB8AA3B
	v_mov_b32_e32 v35, s6                                      // 000000002858: 7E460206
	v_mov_b32_e32 v34, s64                                     // 00000000285C: 7E440240
	v_mul_f32_e32 v34, s6, v34                                 // 000000002860: 0A444406
	v_rcp_f32_e32 v35, v35                                     // 000000002864: 7E464523
	v_mov_b32_e32 v12, 0xff800000                              // 000000002868: 7E1802FF FF800000
	v_mov_b32_e32 v13, 0xff800000                              // 000000002870: 7E1A02FF FF800000
	v_mov_b32_e32 v11, 0xff800000                              // 000000002878: 7E1602FF FF800000
	v_mov_b32_e32 v20, 0                                       // 000000002880: 7E280280
	v_mov_b32_e32 v21, 0                                       // 000000002884: 7E2A0280
	v_mov_b32_e32 v15, 0                                       // 000000002888: 7E1E0280
	v_mov_b32_e32 v16, 0                                       // 00000000288C: 7E200280
	v_mov_b32_e32 v31, 0xffff0000                              // 000000002890: 7E3E02FF FFFF0000
	v_mov_b32_e32 v32, 0x7fff0000                              // 000000002898: 7E4002FF 7FFF0000
	v_mov_b32_e32 v33, 0x7fff                                  // 0000000028A0: 7E4202FF 00007FFF
	v_readfirstlane_b32 s5, v34                                // 0000000028A8: 7E0A0522
	v_readfirstlane_b32 s63, v35                               // 0000000028AC: 7E7E0523
	s_waitcnt lgkmcnt(0)                                       // 0000000028B0: BF8CC07F
	v_mov_b32_e32 v34, s42                                     // 0000000028B4: 7E44022A
	v_mul_f32_e32 v34, s43, v34                                // 0000000028B8: 0A44442B
	v_mul_f32_e32 v35, s5, v34                                 // 0000000028BC: 0A464405
	v_mul_f32_e32 v37, s64, v34                                // 0000000028C0: 0A4A4440
	v_readfirstlane_b32 s5, v35                                // 0000000028C4: 7E0A0523
	v_readfirstlane_b32 s64, v37                               // 0000000028C8: 7E800525
	v_and_b32_e32 v4, 15, v0                                   // 0000000028CC: 2608008F
	v_lshlrev_b32_e32 v4, 2, v4                                // 0000000028D0: 24080882
	v_lshlrev_b32_e32 v5, 2, v0                                // 0000000028D4: 240A0082
	s_mul_i32 s56, 0x100, s7                                   // 0000000028D8: 923807FF 00000100
	v_add_u32_e32 v5, s56, v5                                  // 0000000028E0: 680A0A38
	v_and_b32_e32 v34, 15, v0                                  // 0000000028E4: 2644008F
	v_mul_i32_i24_e32 v34, 18, v34                             // 0000000028E8: 0C444492
	v_lshrrev_b32_e32 v35, 4, v0                               // 0000000028EC: 20460084
	v_lshlrev_b32_e32 v35, 1, v35                              // 0000000028F0: 24464681
	v_add_u32_e32 v6, v35, v34                                 // 0000000028F4: 680C4523
	v_lshlrev_b32_e32 v6, 2, v6                                // 0000000028F8: 240C0C82
	v_and_b32_e32 v34, 15, v0                                  // 0000000028FC: 2644008F
	v_mul_i32_i24_e32 v34, 18, v34                             // 000000002900: 0C444492
	v_lshrrev_b32_e32 v35, 4, v0                               // 000000002904: 20460084
	s_mul_i32 s56, s7, 4                                       // 000000002908: 92388407
	v_add_u32_e32 v35, s56, v35                                // 00000000290C: 68464638
	v_add_u32_e32 v7, v35, v34                                 // 000000002910: 680E4523
	v_lshlrev_b32_e32 v7, 2, v7                                // 000000002914: 240E0E82
	v_and_b32_e32 v34, 15, v0                                  // 000000002918: 2644008F
	v_lshlrev_b32_e32 v2, 2, v34                               // 00000000291C: 24044482
	v_lshlrev_b32_e32 v3, 2, v34                               // 000000002920: 24064482
	s_mul_i32 s56, s7, 0x80                                    // 000000002924: 9238FF07 00000080
	v_add_u32_e32 v2, s56, v2                                  // 00000000292C: 68040438
	s_mul_i32 s56, 4, 0x80                                     // 000000002930: 9238FF84 00000080
	v_add_u32_e32 v3, s56, v3                                  // 000000002938: 68060638
	s_waitcnt vmcnt(24)                                        // 00000000293C: BF8C4F78
	v_mul_u32_u24_dpp v42, v26, v10 row_newbcast:0 row_mask:0xf bank_mask:0xf// 000000002940: 105414FA FF01501A
	v_mul_u32_u24_dpp v43, v26, v10 row_newbcast:1 row_mask:0xf bank_mask:0xf// 000000002948: 105614FA FF01511A
	v_mul_u32_u24_dpp v44, v26, v10 row_newbcast:2 row_mask:0xf bank_mask:0xf// 000000002950: 105814FA FF01521A
	v_mul_u32_u24_dpp v45, v26, v10 row_newbcast:3 row_mask:0xf bank_mask:0xf// 000000002958: 105A14FA FF01531A
	v_mul_u32_u24_dpp v46, v26, v10 row_newbcast:4 row_mask:0xf bank_mask:0xf// 000000002960: 105C14FA FF01541A
	v_mul_u32_u24_dpp v47, v26, v10 row_newbcast:5 row_mask:0xf bank_mask:0xf// 000000002968: 105E14FA FF01551A
	v_mul_u32_u24_dpp v48, v26, v10 row_newbcast:6 row_mask:0xf bank_mask:0xf// 000000002970: 106014FA FF01561A
	v_mul_u32_u24_dpp v49, v26, v10 row_newbcast:7 row_mask:0xf bank_mask:0xf// 000000002978: 106214FA FF01571A
	v_mul_u32_u24_dpp v50, v26, v10 row_newbcast:8 row_mask:0xf bank_mask:0xf// 000000002980: 106414FA FF01581A
	v_mul_u32_u24_dpp v51, v26, v10 row_newbcast:9 row_mask:0xf bank_mask:0xf// 000000002988: 106614FA FF01591A
	v_mul_u32_u24_dpp v52, v26, v10 row_newbcast:10 row_mask:0xf bank_mask:0xf// 000000002990: 106814FA FF015A1A
	v_mul_u32_u24_dpp v53, v26, v10 row_newbcast:11 row_mask:0xf bank_mask:0xf// 000000002998: 106A14FA FF015B1A
	v_mul_u32_u24_dpp v54, v26, v10 row_newbcast:12 row_mask:0xf bank_mask:0xf// 0000000029A0: 106C14FA FF015C1A
	v_mul_u32_u24_dpp v55, v26, v10 row_newbcast:13 row_mask:0xf bank_mask:0xf// 0000000029A8: 106E14FA FF015D1A
	v_mul_u32_u24_dpp v56, v26, v10 row_newbcast:14 row_mask:0xf bank_mask:0xf// 0000000029B0: 107014FA FF015E1A
	v_mul_u32_u24_dpp v57, v26, v10 row_newbcast:15 row_mask:0xf bank_mask:0xf// 0000000029B8: 107214FA FF015F1A
	s_mov_b32 s56, m0                                          // 0000000029C0: BEB8007C
	s_set_gpr_idx_on s51, gpr_idx(SRC0)                        // 0000000029C4: BF110133
	v_add_u32_e32 v38, v42, v3                                 // 0000000029C8: 684C072A
	v_add_u32_e32 v39, v43, v3                                 // 0000000029CC: 684E072B
	v_add_u32_e32 v40, v44, v3                                 // 0000000029D0: 6850072C
	v_add_u32_e32 v41, v45, v3                                 // 0000000029D4: 6852072D
	s_set_gpr_idx_off                                          // 0000000029D8: BF9C0000
	s_mov_b32 m0, s56                                          // 0000000029DC: BEFC0038
	v_add_u32_e32 v42, v42, v2                                 // 0000000029E0: 6854052A
	v_add_u32_e32 v43, v43, v2                                 // 0000000029E4: 6856052B
	v_add_u32_e32 v44, v44, v2                                 // 0000000029E8: 6858052C
	v_add_u32_e32 v45, v45, v2                                 // 0000000029EC: 685A052D
	v_add_u32_e32 v46, v46, v2                                 // 0000000029F0: 685C052E
	v_add_u32_e32 v47, v47, v2                                 // 0000000029F4: 685E052F
	v_add_u32_e32 v48, v48, v2                                 // 0000000029F8: 68600530
	v_add_u32_e32 v49, v49, v2                                 // 0000000029FC: 68620531
	v_add_u32_e32 v50, v50, v2                                 // 000000002A00: 68640532
	v_add_u32_e32 v51, v51, v2                                 // 000000002A04: 68660533
	v_add_u32_e32 v52, v52, v2                                 // 000000002A08: 68680534
	v_add_u32_e32 v53, v53, v2                                 // 000000002A0C: 686A0535
	v_add_u32_e32 v54, v54, v2                                 // 000000002A10: 686C0536
	v_add_u32_e32 v55, v55, v2                                 // 000000002A14: 686E0537
	v_add_u32_e32 v56, v56, v2                                 // 000000002A18: 68700538
	v_add_u32_e32 v57, v57, v2                                 // 000000002A1C: 68720539
	buffer_load_dword v154, v42, s[20:23], 0 offen             // 000000002A20: E0501000 80059A2A
	buffer_load_dword v155, v42, s[20:23], 0 offen offset:64   // 000000002A28: E0501040 80059B2A
	buffer_load_dword v156, v43, s[20:23], 0 offen             // 000000002A30: E0501000 80059C2B
	buffer_load_dword v157, v43, s[20:23], 0 offen offset:64   // 000000002A38: E0501040 80059D2B
	buffer_load_dword v158, v44, s[20:23], 0 offen             // 000000002A40: E0501000 80059E2C
	buffer_load_dword v159, v44, s[20:23], 0 offen offset:64   // 000000002A48: E0501040 80059F2C
	buffer_load_dword v160, v45, s[20:23], 0 offen             // 000000002A50: E0501000 8005A02D
	buffer_load_dword v161, v45, s[20:23], 0 offen offset:64   // 000000002A58: E0501040 8005A12D
	buffer_load_dword v162, v46, s[20:23], 0 offen             // 000000002A60: E0501000 8005A22E
	buffer_load_dword v163, v46, s[20:23], 0 offen offset:64   // 000000002A68: E0501040 8005A32E
	buffer_load_dword v164, v47, s[20:23], 0 offen             // 000000002A70: E0501000 8005A42F
	buffer_load_dword v165, v47, s[20:23], 0 offen offset:64   // 000000002A78: E0501040 8005A52F
	buffer_load_dword v166, v48, s[20:23], 0 offen             // 000000002A80: E0501000 8005A630
	buffer_load_dword v167, v48, s[20:23], 0 offen offset:64   // 000000002A88: E0501040 8005A730
	buffer_load_dword v168, v49, s[20:23], 0 offen             // 000000002A90: E0501000 8005A831
	buffer_load_dword v169, v49, s[20:23], 0 offen offset:64   // 000000002A98: E0501040 8005A931
	buffer_load_dword v170, v50, s[20:23], 0 offen             // 000000002AA0: E0501000 8005AA32
	buffer_load_dword v171, v50, s[20:23], 0 offen offset:64   // 000000002AA8: E0501040 8005AB32
	buffer_load_dword v172, v51, s[20:23], 0 offen             // 000000002AB0: E0501000 8005AC33
	buffer_load_dword v173, v51, s[20:23], 0 offen offset:64   // 000000002AB8: E0501040 8005AD33
	buffer_load_dword v174, v52, s[20:23], 0 offen             // 000000002AC0: E0501000 8005AE34
	buffer_load_dword v175, v52, s[20:23], 0 offen offset:64   // 000000002AC8: E0501040 8005AF34
	buffer_load_dword v176, v53, s[20:23], 0 offen             // 000000002AD0: E0501000 8005B035
	buffer_load_dword v177, v53, s[20:23], 0 offen offset:64   // 000000002AD8: E0501040 8005B135
	buffer_load_dword v178, v54, s[20:23], 0 offen             // 000000002AE0: E0501000 8005B236
	buffer_load_dword v179, v54, s[20:23], 0 offen offset:64   // 000000002AE8: E0501040 8005B336
	buffer_load_dword v180, v55, s[20:23], 0 offen             // 000000002AF0: E0501000 8005B437
	buffer_load_dword v181, v55, s[20:23], 0 offen offset:64   // 000000002AF8: E0501040 8005B537
	buffer_load_dword v182, v56, s[20:23], 0 offen             // 000000002B00: E0501000 8005B638
	buffer_load_dword v183, v56, s[20:23], 0 offen offset:64   // 000000002B08: E0501040 8005B738
	buffer_load_dword v184, v57, s[20:23], 0 offen             // 000000002B10: E0501000 8005B839
	buffer_load_dword v185, v57, s[20:23], 0 offen offset:64   // 000000002B18: E0501040 8005B939
	buffer_load_dword v74, v38, s[20:23], 0 offen              // 000000002B20: E0501000 80054A26
	buffer_load_dword v75, v39, s[20:23], 0 offen              // 000000002B28: E0501000 80054B27
	buffer_load_dword v76, v40, s[20:23], 0 offen              // 000000002B30: E0501000 80054C28
	buffer_load_dword v77, v41, s[20:23], 0 offen              // 000000002B38: E0501000 80054D29
	buffer_load_dword v26, v28, s[24:27], 0 offen              // 000000002B40: E0501000 80061A1C
	v_add_u32_e32 v28, s73, v28                                // 000000002B48: 68383849
	v_lshrrev_b32_e32 v34, 4, v0                               // 000000002B4C: 20440084
	v_lshlrev_b32_e32 v35, 2, v34                              // 000000002B50: 24464482
	v_and_b32_e32 v34, 15, v0                                  // 000000002B54: 2644008F
	v_lshrrev_b32_e32 v36, 2, v34                              // 000000002B58: 20484482
	v_mul_i32_i24_e32 v36, 0xc0, v36                           // 000000002B5C: 0C4848FF 000000C0
	v_add_u32_e32 v35, v36, v35                                // 000000002B64: 68464724
	v_and_b32_e32 v34, 3, v0                                   // 000000002B68: 26440083
	v_mul_i32_i24_e32 v36, 0x308, v34                          // 000000002B6C: 0C4844FF 00000308
	v_add_u32_e32 v35, v36, v35                                // 000000002B74: 68464724
	v_lshlrev_b32_e32 v1, 2, v35                               // 000000002B78: 24024682
	s_waitcnt vmcnt(37) lgkmcnt(0)                             // 000000002B7C: BF8C8075
	s_barrier                                                  // 000000002B80: BF8A0000
	ds_read_b128 a[0:3], v1                                    // 000000002B84: DBFE0000 00000001
	ds_read_b128 a[4:7], v1 offset:64                          // 000000002B8C: DBFE0040 04000001
	ds_read_b128 a[8:11], v1 offset:128                        // 000000002B94: DBFE0080 08000001
	ds_read_b128 a[12:15], v1 offset:192                       // 000000002B9C: DBFE00C0 0C000001
	ds_read_b128 a[16:19], v1 offset:256                       // 000000002BA4: DBFE0100 10000001
	ds_read_b128 a[20:23], v1 offset:320                       // 000000002BAC: DBFE0140 14000001
	ds_read_b128 a[24:27], v1 offset:384                       // 000000002BB4: DBFE0180 18000001
	ds_read_b128 a[28:31], v1 offset:448                       // 000000002BBC: DBFE01C0 1C000001
	ds_read_b128 a[32:35], v1 offset:512                       // 000000002BC4: DBFE0200 20000001
	ds_read_b128 a[36:39], v1 offset:12288                     // 000000002BCC: DBFE3000 24000001
	ds_read_b128 a[40:43], v1 offset:12352                     // 000000002BD4: DBFE3040 28000001
	ds_read_b128 a[44:47], v1 offset:12416                     // 000000002BDC: DBFE3080 2C000001
	ds_read_b128 a[48:51], v1 offset:12480                     // 000000002BE4: DBFE30C0 30000001
	ds_read_b128 a[52:55], v1 offset:12544                     // 000000002BEC: DBFE3100 34000001
	ds_read_b128 a[56:59], v1 offset:12608                     // 000000002BF4: DBFE3140 38000001
	ds_read_b128 a[60:63], v1 offset:12672                     // 000000002BFC: DBFE3180 3C000001
	ds_read_b128 a[64:67], v1 offset:12736                     // 000000002C04: DBFE31C0 40000001
	ds_read_b128 a[68:71], v1 offset:12800                     // 000000002C0C: DBFE3200 44000001
	v_mov_b32_e32 v90, 0                                       // 000000002C14: 7EB40280
	v_mov_b32_e32 v91, 0                                       // 000000002C18: 7EB60280
	v_mov_b32_e32 v92, 0                                       // 000000002C1C: 7EB80280
	v_mov_b32_e32 v93, 0                                       // 000000002C20: 7EBA0280
	v_mov_b32_e32 v94, 0                                       // 000000002C24: 7EBC0280
	v_mov_b32_e32 v95, 0                                       // 000000002C28: 7EBE0280
	v_mov_b32_e32 v96, 0                                       // 000000002C2C: 7EC00280
	v_mov_b32_e32 v97, 0                                       // 000000002C30: 7EC20280
	v_mov_b32_e32 v98, 0                                       // 000000002C34: 7EC40280
	v_mov_b32_e32 v99, 0                                       // 000000002C38: 7EC60280
	v_mov_b32_e32 v100, 0                                      // 000000002C3C: 7EC80280
	v_mov_b32_e32 v101, 0                                      // 000000002C40: 7ECA0280
	v_mov_b32_e32 v102, 0                                      // 000000002C44: 7ECC0280
	v_mov_b32_e32 v103, 0                                      // 000000002C48: 7ECE0280
	v_mov_b32_e32 v104, 0                                      // 000000002C4C: 7ED00280
	v_mov_b32_e32 v105, 0                                      // 000000002C50: 7ED20280
	v_mov_b32_e32 v106, 0                                      // 000000002C54: 7ED40280
	v_mov_b32_e32 v107, 0                                      // 000000002C58: 7ED60280
	v_mov_b32_e32 v108, 0                                      // 000000002C5C: 7ED80280
	v_mov_b32_e32 v109, 0                                      // 000000002C60: 7EDA0280
	v_mov_b32_e32 v110, 0                                      // 000000002C64: 7EDC0280
	v_mov_b32_e32 v111, 0                                      // 000000002C68: 7EDE0280
	v_mov_b32_e32 v112, 0                                      // 000000002C6C: 7EE00280
	v_mov_b32_e32 v113, 0                                      // 000000002C70: 7EE20280
	v_mov_b32_e32 v114, 0                                      // 000000002C74: 7EE40280
	v_mov_b32_e32 v115, 0                                      // 000000002C78: 7EE60280
	v_mov_b32_e32 v116, 0                                      // 000000002C7C: 7EE80280
	v_mov_b32_e32 v117, 0                                      // 000000002C80: 7EEA0280
	v_mov_b32_e32 v118, 0                                      // 000000002C84: 7EEC0280
	v_mov_b32_e32 v119, 0                                      // 000000002C88: 7EEE0280
	v_mov_b32_e32 v120, 0                                      // 000000002C8C: 7EF00280
	v_mov_b32_e32 v121, 0                                      // 000000002C90: 7EF20280
	v_mov_b32_e32 v122, 0                                      // 000000002C94: 7EF40280
	v_mov_b32_e32 v123, 0                                      // 000000002C98: 7EF60280
	v_mov_b32_e32 v124, 0                                      // 000000002C9C: 7EF80280
	v_mov_b32_e32 v125, 0                                      // 000000002CA0: 7EFA0280
	v_mov_b32_e32 v126, 0                                      // 000000002CA4: 7EFC0280
	v_mov_b32_e32 v127, 0                                      // 000000002CA8: 7EFE0280
	v_mov_b32_e32 v128, 0                                      // 000000002CAC: 7F000280
	v_mov_b32_e32 v129, 0                                      // 000000002CB0: 7F020280
	v_mov_b32_e32 v130, 0                                      // 000000002CB4: 7F040280
	v_mov_b32_e32 v131, 0                                      // 000000002CB8: 7F060280
	v_mov_b32_e32 v132, 0                                      // 000000002CBC: 7F080280
	v_mov_b32_e32 v133, 0                                      // 000000002CC0: 7F0A0280
	v_mov_b32_e32 v134, 0                                      // 000000002CC4: 7F0C0280
	v_mov_b32_e32 v135, 0                                      // 000000002CC8: 7F0E0280
	v_mov_b32_e32 v136, 0                                      // 000000002CCC: 7F100280
	v_mov_b32_e32 v137, 0                                      // 000000002CD0: 7F120280
	v_mov_b32_e32 v138, 0                                      // 000000002CD4: 7F140280
	v_mov_b32_e32 v139, 0                                      // 000000002CD8: 7F160280
	v_mov_b32_e32 v140, 0                                      // 000000002CDC: 7F180280
	v_mov_b32_e32 v141, 0                                      // 000000002CE0: 7F1A0280
	v_mov_b32_e32 v142, 0                                      // 000000002CE4: 7F1C0280
	v_mov_b32_e32 v143, 0                                      // 000000002CE8: 7F1E0280
	v_mov_b32_e32 v144, 0                                      // 000000002CEC: 7F200280
	v_mov_b32_e32 v145, 0                                      // 000000002CF0: 7F220280
	v_mov_b32_e32 v146, 0                                      // 000000002CF4: 7F240280
	v_mov_b32_e32 v147, 0                                      // 000000002CF8: 7F260280
	v_mov_b32_e32 v148, 0                                      // 000000002CFC: 7F280280
	v_mov_b32_e32 v149, 0                                      // 000000002D00: 7F2A0280
	v_mov_b32_e32 v150, 0                                      // 000000002D04: 7F2C0280
	v_mov_b32_e32 v151, 0                                      // 000000002D08: 7F2E0280
	v_mov_b32_e32 v152, 0                                      // 000000002D0C: 7F300280
	v_mov_b32_e32 v153, 0                                      // 000000002D10: 7F320280
	v_lshrrev_b32_e32 v34, 4, v0                               // 000000002D14: 20440084
	v_mul_i32_i24_e32 v35, 0x100, v34                          // 000000002D18: 0C4644FF 00000100
	v_and_b32_e32 v34, 15, v0                                  // 000000002D20: 2644008F
	v_mul_i32_i24_e32 v36, 1, v34                              // 000000002D24: 0C484481
	v_add_u32_e32 v22, v36, v35                                // 000000002D28: 682C4724
	s_mul_i32 s56, s7, 32                                      // 000000002D2C: 9238A007
	v_add_u32_e32 v22, s56, v22                                // 000000002D30: 682C2C38
	v_lshlrev_b32_e32 v22, 2, v22                              // 000000002D34: 242C2C82
	v_lshrrev_b32_e32 v34, 4, v0                               // 000000002D38: 20440084
	v_mul_i32_i24_e32 v35, 0x90, v34                           // 000000002D3C: 0C4644FF 00000090
	v_and_b32_e32 v36, 15, v0                                  // 000000002D44: 2648008F
	v_add_u32_e32 v23, v36, v35                                // 000000002D48: 682E4724
	s_and_b32 s56, 1, s7                                       // 000000002D4C: 86380781
	s_mul_i32 s56, s56, 0x48                                   // 000000002D50: 9238FF38 00000048
	s_lshr_b32 s57, s7, 1                                      // 000000002D58: 8F398107
	s_mul_i32 s57, s57, 0x240                                  // 000000002D5C: 9239FF39 00000240
	s_add_u32 s56, s56, s57                                    // 000000002D64: 80383938
	v_add_u32_e32 v23, s56, v23                                // 000000002D68: 682E2E38
	v_lshlrev_b32_e32 v23, 2, v23                              // 000000002D6C: 242E2E82
	v_lshrrev_b32_e32 v34, 4, v0                               // 000000002D70: 20440084
	v_mul_i32_i24_e32 v35, 4, v34                              // 000000002D74: 0C464484
	v_and_b32_e32 v34, 15, v0                                  // 000000002D78: 2644008F
	v_and_b32_e32 v36, 3, v34                                  // 000000002D7C: 26484483
	v_mul_i32_i24_e32 v36, 0x408, v36                          // 000000002D80: 0C4848FF 00000408
	v_add_u32_e32 v24, v36, v35                                // 000000002D88: 68304724
	v_lshrrev_b32_e32 v34, 2, v34                              // 000000002D8C: 20444482
	v_mul_i32_i24_e32 v34, 0x80, v34                           // 000000002D90: 0C4444FF 00000080
	v_add_u32_e32 v24, v34, v24                                // 000000002D98: 68303122
	s_and_b32 s56, 1, s7                                       // 000000002D9C: 86380781
	s_mul_i32 s56, s56, 0x200                                  // 000000002DA0: 9238FF38 00000200
	v_add_u32_e32 v24, s56, v24                                // 000000002DA8: 68303038
	v_lshlrev_b32_e32 v24, 2, v24                              // 000000002DAC: 24303082
	v_lshrrev_b32_e32 v34, 4, v0                               // 000000002DB0: 20440084
	v_mul_i32_i24_e32 v35, 4, v34                              // 000000002DB4: 0C464484
	v_and_b32_e32 v36, 15, v0                                  // 000000002DB8: 2648008F
	v_mul_i32_i24_e32 v36, 18, v36                             // 000000002DBC: 0C484892
	v_add_u32_e32 v25, v36, v35                                // 000000002DC0: 68324724
	s_mul_i32 s56, s7, 0x120                                   // 000000002DC4: 9238FF07 00000120
	v_add_u32_e32 v25, s56, v25                                // 000000002DCC: 68323238
	v_lshlrev_b32_e32 v25, 2, v25                              // 000000002DD0: 24323282
	v_mul_u32_u24_dpp v42, v27, v10 row_newbcast:0 row_mask:0xf bank_mask:0xf// 000000002DD4: 105414FA FF01501B
	v_mul_u32_u24_dpp v43, v27, v10 row_newbcast:1 row_mask:0xf bank_mask:0xf// 000000002DDC: 105614FA FF01511B
	v_mul_u32_u24_dpp v44, v27, v10 row_newbcast:2 row_mask:0xf bank_mask:0xf// 000000002DE4: 105814FA FF01521B
	v_mul_u32_u24_dpp v45, v27, v10 row_newbcast:3 row_mask:0xf bank_mask:0xf// 000000002DEC: 105A14FA FF01531B
	v_mul_u32_u24_dpp v46, v27, v10 row_newbcast:4 row_mask:0xf bank_mask:0xf// 000000002DF4: 105C14FA FF01541B
	v_mul_u32_u24_dpp v47, v27, v10 row_newbcast:5 row_mask:0xf bank_mask:0xf// 000000002DFC: 105E14FA FF01551B
	v_mul_u32_u24_dpp v48, v27, v10 row_newbcast:6 row_mask:0xf bank_mask:0xf// 000000002E04: 106014FA FF01561B
	v_mul_u32_u24_dpp v49, v27, v10 row_newbcast:7 row_mask:0xf bank_mask:0xf// 000000002E0C: 106214FA FF01571B
	v_mul_u32_u24_dpp v50, v27, v10 row_newbcast:8 row_mask:0xf bank_mask:0xf// 000000002E14: 106414FA FF01581B
	v_mul_u32_u24_dpp v51, v27, v10 row_newbcast:9 row_mask:0xf bank_mask:0xf// 000000002E1C: 106614FA FF01591B
	v_mul_u32_u24_dpp v52, v27, v10 row_newbcast:10 row_mask:0xf bank_mask:0xf// 000000002E24: 106814FA FF015A1B
	v_mul_u32_u24_dpp v53, v27, v10 row_newbcast:11 row_mask:0xf bank_mask:0xf// 000000002E2C: 106A14FA FF015B1B
	v_mul_u32_u24_dpp v54, v27, v10 row_newbcast:12 row_mask:0xf bank_mask:0xf// 000000002E34: 106C14FA FF015C1B
	v_mul_u32_u24_dpp v55, v27, v10 row_newbcast:13 row_mask:0xf bank_mask:0xf// 000000002E3C: 106E14FA FF015D1B
	v_mul_u32_u24_dpp v56, v27, v10 row_newbcast:14 row_mask:0xf bank_mask:0xf// 000000002E44: 107014FA FF015E1B
	v_mul_u32_u24_dpp v57, v27, v10 row_newbcast:15 row_mask:0xf bank_mask:0xf// 000000002E4C: 107214FA FF015F1B
	s_mov_b32 s56, m0                                          // 000000002E54: BEB8007C
	s_set_gpr_idx_on s51, gpr_idx(SRC0)                        // 000000002E58: BF110133
	v_add_u32_e32 v38, v42, v3                                 // 000000002E5C: 684C072A
	v_add_u32_e32 v39, v43, v3                                 // 000000002E60: 684E072B
	v_add_u32_e32 v40, v44, v3                                 // 000000002E64: 6850072C
	v_add_u32_e32 v41, v45, v3                                 // 000000002E68: 6852072D
	s_set_gpr_idx_off                                          // 000000002E6C: BF9C0000
	s_mov_b32 m0, s56                                          // 000000002E70: BEFC0038
	v_add_u32_e32 v42, v42, v2                                 // 000000002E74: 6854052A
	v_add_u32_e32 v43, v43, v2                                 // 000000002E78: 6856052B
	v_add_u32_e32 v44, v44, v2                                 // 000000002E7C: 6858052C
	v_add_u32_e32 v45, v45, v2                                 // 000000002E80: 685A052D
	v_add_u32_e32 v46, v46, v2                                 // 000000002E84: 685C052E
	v_add_u32_e32 v47, v47, v2                                 // 000000002E88: 685E052F
	v_add_u32_e32 v48, v48, v2                                 // 000000002E8C: 68600530
	v_add_u32_e32 v49, v49, v2                                 // 000000002E90: 68620531
	v_add_u32_e32 v50, v50, v2                                 // 000000002E94: 68640532
	v_add_u32_e32 v51, v51, v2                                 // 000000002E98: 68660533
	v_add_u32_e32 v52, v52, v2                                 // 000000002E9C: 68680534
	v_add_u32_e32 v53, v53, v2                                 // 000000002EA0: 686A0535
	v_add_u32_e32 v54, v54, v2                                 // 000000002EA4: 686C0536
	v_add_u32_e32 v55, v55, v2                                 // 000000002EA8: 686E0537
	v_add_u32_e32 v56, v56, v2                                 // 000000002EAC: 68700538
	v_add_u32_e32 v57, v57, v2                                 // 000000002EB0: 68720539
	buffer_load_dword v27, v28, s[24:27], 0 offen              // 000000002EB4: E0501000 80061B1C
	v_add_u32_e32 v28, s73, v28                                // 000000002EBC: 68383849
	buffer_load_dword v186, v42, s[20:23], 0 offen             // 000000002EC0: E0501000 8005BA2A
	buffer_load_dword v187, v42, s[20:23], 0 offen offset:64   // 000000002EC8: E0501040 8005BB2A
	buffer_load_dword v188, v43, s[20:23], 0 offen             // 000000002ED0: E0501000 8005BC2B
	buffer_load_dword v189, v43, s[20:23], 0 offen offset:64   // 000000002ED8: E0501040 8005BD2B
	buffer_load_dword v190, v44, s[20:23], 0 offen             // 000000002EE0: E0501000 8005BE2C
	buffer_load_dword v191, v44, s[20:23], 0 offen offset:64   // 000000002EE8: E0501040 8005BF2C
	buffer_load_dword v192, v45, s[20:23], 0 offen             // 000000002EF0: E0501000 8005C02D
	buffer_load_dword v193, v45, s[20:23], 0 offen offset:64   // 000000002EF8: E0501040 8005C12D
	buffer_load_dword v194, v46, s[20:23], 0 offen             // 000000002F00: E0501000 8005C22E
	buffer_load_dword v195, v46, s[20:23], 0 offen offset:64   // 000000002F08: E0501040 8005C32E
	buffer_load_dword v196, v47, s[20:23], 0 offen             // 000000002F10: E0501000 8005C42F
	buffer_load_dword v197, v47, s[20:23], 0 offen offset:64   // 000000002F18: E0501040 8005C52F
	buffer_load_dword v198, v48, s[20:23], 0 offen             // 000000002F20: E0501000 8005C630
	buffer_load_dword v199, v48, s[20:23], 0 offen offset:64   // 000000002F28: E0501040 8005C730
	buffer_load_dword v200, v49, s[20:23], 0 offen             // 000000002F30: E0501000 8005C831
	buffer_load_dword v201, v49, s[20:23], 0 offen offset:64   // 000000002F38: E0501040 8005C931
	buffer_load_dword v78, v38, s[20:23], 0 offen              // 000000002F40: E0501000 80054E26
	buffer_load_dword v79, v39, s[20:23], 0 offen              // 000000002F48: E0501000 80054F27
	buffer_load_dword v80, v40, s[20:23], 0 offen              // 000000002F50: E0501000 80055028
	buffer_load_dword v81, v41, s[20:23], 0 offen              // 000000002F58: E0501000 80055129
	buffer_load_dword v202, v50, s[20:23], 0 offen             // 000000002F60: E0501000 8005CA32
	buffer_load_dword v203, v50, s[20:23], 0 offen offset:64   // 000000002F68: E0501040 8005CB32
	buffer_load_dword v204, v51, s[20:23], 0 offen             // 000000002F70: E0501000 8005CC33
	buffer_load_dword v205, v51, s[20:23], 0 offen offset:64   // 000000002F78: E0501040 8005CD33
	buffer_load_dword v206, v52, s[20:23], 0 offen             // 000000002F80: E0501000 8005CE34
	buffer_load_dword v207, v52, s[20:23], 0 offen offset:64   // 000000002F88: E0501040 8005CF34
	buffer_load_dword v208, v53, s[20:23], 0 offen             // 000000002F90: E0501000 8005D035
	buffer_load_dword v209, v53, s[20:23], 0 offen offset:64   // 000000002F98: E0501040 8005D135
	buffer_load_dword v210, v54, s[20:23], 0 offen             // 000000002FA0: E0501000 8005D236
	buffer_load_dword v211, v54, s[20:23], 0 offen offset:64   // 000000002FA8: E0501040 8005D336
	buffer_load_dword v212, v55, s[20:23], 0 offen             // 000000002FB0: E0501000 8005D437
	buffer_load_dword v213, v55, s[20:23], 0 offen offset:64   // 000000002FB8: E0501040 8005D537
	buffer_load_dword v214, v56, s[20:23], 0 offen             // 000000002FC0: E0501000 8005D638
	buffer_load_dword v215, v56, s[20:23], 0 offen offset:64   // 000000002FC8: E0501040 8005D738
	buffer_load_dword v216, v57, s[20:23], 0 offen             // 000000002FD0: E0501000 8005D839
	buffer_load_dword v217, v57, s[20:23], 0 offen offset:64   // 000000002FD8: E0501040 8005D939
	s_waitcnt vmcnt(37) lgkmcnt(0)                             // 000000002FE0: BF8C8075
	s_barrier                                                  // 000000002FE4: BF8A0000
	v_mul_u32_u24_dpp v42, v26, v10 row_newbcast:0 row_mask:0xf bank_mask:0xf// 000000002FE8: 105414FA FF01501A
	v_mul_u32_u24_dpp v43, v26, v10 row_newbcast:1 row_mask:0xf bank_mask:0xf// 000000002FF0: 105614FA FF01511A
	v_mul_u32_u24_dpp v44, v26, v10 row_newbcast:2 row_mask:0xf bank_mask:0xf// 000000002FF8: 105814FA FF01521A
	v_mul_u32_u24_dpp v45, v26, v10 row_newbcast:3 row_mask:0xf bank_mask:0xf// 000000003000: 105A14FA FF01531A
	v_mul_u32_u24_dpp v46, v26, v10 row_newbcast:4 row_mask:0xf bank_mask:0xf// 000000003008: 105C14FA FF01541A
	v_mul_u32_u24_dpp v47, v26, v10 row_newbcast:5 row_mask:0xf bank_mask:0xf// 000000003010: 105E14FA FF01551A
	v_mul_u32_u24_dpp v48, v26, v10 row_newbcast:6 row_mask:0xf bank_mask:0xf// 000000003018: 106014FA FF01561A
	v_mul_u32_u24_dpp v49, v26, v10 row_newbcast:7 row_mask:0xf bank_mask:0xf// 000000003020: 106214FA FF01571A
	v_mul_u32_u24_dpp v50, v26, v10 row_newbcast:8 row_mask:0xf bank_mask:0xf// 000000003028: 106414FA FF01581A
	v_mul_u32_u24_dpp v51, v26, v10 row_newbcast:9 row_mask:0xf bank_mask:0xf// 000000003030: 106614FA FF01591A
	v_mul_u32_u24_dpp v52, v26, v10 row_newbcast:10 row_mask:0xf bank_mask:0xf// 000000003038: 106814FA FF015A1A
	v_mul_u32_u24_dpp v53, v26, v10 row_newbcast:11 row_mask:0xf bank_mask:0xf// 000000003040: 106A14FA FF015B1A
	v_mul_u32_u24_dpp v54, v26, v10 row_newbcast:12 row_mask:0xf bank_mask:0xf// 000000003048: 106C14FA FF015C1A
	v_mul_u32_u24_dpp v55, v26, v10 row_newbcast:13 row_mask:0xf bank_mask:0xf// 000000003050: 106E14FA FF015D1A
	v_mul_u32_u24_dpp v56, v26, v10 row_newbcast:14 row_mask:0xf bank_mask:0xf// 000000003058: 107014FA FF015E1A
	v_mul_u32_u24_dpp v57, v26, v10 row_newbcast:15 row_mask:0xf bank_mask:0xf// 000000003060: 107214FA FF015F1A
	s_mov_b32 s56, m0                                          // 000000003068: BEB8007C
	s_set_gpr_idx_on s51, gpr_idx(SRC0)                        // 00000000306C: BF110133
	v_add_u32_e32 v38, v42, v3                                 // 000000003070: 684C072A
	v_add_u32_e32 v39, v43, v3                                 // 000000003074: 684E072B
	v_add_u32_e32 v40, v44, v3                                 // 000000003078: 6850072C
	v_add_u32_e32 v41, v45, v3                                 // 00000000307C: 6852072D
	s_set_gpr_idx_off                                          // 000000003080: BF9C0000
	s_mov_b32 m0, s56                                          // 000000003084: BEFC0038
	v_add_u32_e32 v42, v42, v2                                 // 000000003088: 6854052A
	v_add_u32_e32 v43, v43, v2                                 // 00000000308C: 6856052B
	v_add_u32_e32 v44, v44, v2                                 // 000000003090: 6858052C
	v_add_u32_e32 v45, v45, v2                                 // 000000003094: 685A052D
	v_add_u32_e32 v46, v46, v2                                 // 000000003098: 685C052E
	v_add_u32_e32 v47, v47, v2                                 // 00000000309C: 685E052F
	v_add_u32_e32 v48, v48, v2                                 // 0000000030A0: 68600530
	v_add_u32_e32 v49, v49, v2                                 // 0000000030A4: 68620531
	v_add_u32_e32 v50, v50, v2                                 // 0000000030A8: 68640532
	v_add_u32_e32 v51, v51, v2                                 // 0000000030AC: 68660533
	v_add_u32_e32 v52, v52, v2                                 // 0000000030B0: 68680534
	v_add_u32_e32 v53, v53, v2                                 // 0000000030B4: 686A0535
	v_add_u32_e32 v54, v54, v2                                 // 0000000030B8: 686C0536
	v_add_u32_e32 v55, v55, v2                                 // 0000000030BC: 686E0537
	v_add_u32_e32 v56, v56, v2                                 // 0000000030C0: 68700538
	v_add_u32_e32 v57, v57, v2                                 // 0000000030C4: 68720539
	ds_write_b32 v22, v154                                     // 0000000030C8: D81A0000 00009A16
	ds_write_b32 v22, v155 offset:64                           // 0000000030D0: D81A0040 00009B16
	ds_write_b32 v22, v156 offset:4128                         // 0000000030D8: D81A1020 00009C16
	ds_write_b32 v22, v157 offset:4192                         // 0000000030E0: D81A1060 00009D16
	ds_write_b32 v22, v158 offset:8256                         // 0000000030E8: D81A2040 00009E16
	ds_write_b32 v22, v159 offset:8320                         // 0000000030F0: D81A2080 00009F16
	ds_write_b32 v22, v160 offset:12384                        // 0000000030F8: D81A3060 0000A016
	ds_write_b32 v22, v161 offset:12448                        // 000000003100: D81A30A0 0000A116
	ds_write_b32 v22, v162 offset:512                          // 000000003108: D81A0200 0000A216
	ds_write_b32 v22, v163 offset:576                          // 000000003110: D81A0240 0000A316
	ds_write_b32 v22, v164 offset:4640                         // 000000003118: D81A1220 0000A416
	ds_write_b32 v22, v165 offset:4704                         // 000000003120: D81A1260 0000A516
	ds_write_b32 v22, v166 offset:8768                         // 000000003128: D81A2240 0000A616
	ds_write_b32 v22, v167 offset:8832                         // 000000003130: D81A2280 0000A716
	ds_write_b32 v22, v168 offset:12896                        // 000000003138: D81A3260 0000A816
	ds_write_b32 v22, v169 offset:12960                        // 000000003140: D81A32A0 0000A916
	ds_write_b32 v23, v74 offset:16512                         // 000000003148: D81A4080 00004A17
	ds_write_b32 v23, v75 offset:16584                         // 000000003150: D81A40C8 00004B17
	ds_write_b32 v23, v76 offset:16656                         // 000000003158: D81A4110 00004C17
	ds_write_b32 v23, v77 offset:16728                         // 000000003160: D81A4158 00004D17
	s_waitcnt lgkmcnt(0)                                       // 000000003168: BF8CC07F
	s_barrier                                                  // 00000000316C: BF8A0000
	s_cmp_lt_i32 s7, 2                                         // 000000003170: BF048207
	s_cbranch_scc0 label_03AE                                  // 000000003174: BF840010
	ds_read_b128 a[72:75], v24                                 // 000000003178: DBFE0000 48000018
	ds_read_b128 a[76:79], v24 offset:64                       // 000000003180: DBFE0040 4C000018
	ds_read_b128 a[80:83], v24 offset:128                      // 000000003188: DBFE0080 50000018
	ds_read_b128 a[84:87], v24 offset:192                      // 000000003190: DBFE00C0 54000018
	ds_read_b128 a[88:91], v24 offset:256                      // 000000003198: DBFE0100 58000018
	ds_read_b128 a[92:95], v24 offset:320                      // 0000000031A0: DBFE0140 5C000018
	ds_read_b128 a[96:99], v24 offset:384                      // 0000000031A8: DBFE0180 60000018
	ds_read_b128 a[100:103], v24 offset:448                    // 0000000031B0: DBFE01C0 64000018

00000000000031b8 <label_03AE>:
	s_waitcnt lgkmcnt(0)                                       // 0000000031B8: BF8CC07F
	s_barrier                                                  // 0000000031BC: BF8A0000
	ds_write_b32 v22, v170                                     // 0000000031C0: D81A0000 0000AA16
	ds_write_b32 v22, v171 offset:64                           // 0000000031C8: D81A0040 0000AB16
	ds_write_b32 v22, v172 offset:4128                         // 0000000031D0: D81A1020 0000AC16
	ds_write_b32 v22, v173 offset:4192                         // 0000000031D8: D81A1060 0000AD16
	ds_write_b32 v22, v174 offset:8256                         // 0000000031E0: D81A2040 0000AE16
	ds_write_b32 v22, v175 offset:8320                         // 0000000031E8: D81A2080 0000AF16
	ds_write_b32 v22, v176 offset:12384                        // 0000000031F0: D81A3060 0000B016
	ds_write_b32 v22, v177 offset:12448                        // 0000000031F8: D81A30A0 0000B116
	ds_write_b32 v22, v178 offset:512                          // 000000003200: D81A0200 0000B216
	ds_write_b32 v22, v179 offset:576                          // 000000003208: D81A0240 0000B316
	ds_write_b32 v22, v180 offset:4640                         // 000000003210: D81A1220 0000B416
	ds_write_b32 v22, v181 offset:4704                         // 000000003218: D81A1260 0000B516
	ds_write_b32 v22, v182 offset:8768                         // 000000003220: D81A2240 0000B616
	ds_write_b32 v22, v183 offset:8832                         // 000000003228: D81A2280 0000B716
	ds_write_b32 v22, v184 offset:12896                        // 000000003230: D81A3260 0000B816
	ds_write_b32 v22, v185 offset:12960                        // 000000003238: D81A32A0 0000B916
	s_waitcnt lgkmcnt(0)                                       // 000000003240: BF8CC07F
	s_barrier                                                  // 000000003244: BF8A0000
	ds_read_b64 a[104:105], v25 offset:16512                   // 000000003248: DAEC4080 68000019
	ds_read_b64 a[106:107], v25 offset:16520                   // 000000003250: DAEC4088 6A000019
	s_cmp_lt_i32 s7, 2                                         // 000000003258: BF048207
	s_cbranch_scc1 label_03E8                                  // 00000000325C: BF850010
	ds_read_b128 a[72:75], v24                                 // 000000003260: DBFE0000 48000018
	ds_read_b128 a[76:79], v24 offset:64                       // 000000003268: DBFE0040 4C000018
	ds_read_b128 a[80:83], v24 offset:128                      // 000000003270: DBFE0080 50000018
	ds_read_b128 a[84:87], v24 offset:192                      // 000000003278: DBFE00C0 54000018
	ds_read_b128 a[88:91], v24 offset:256                      // 000000003280: DBFE0100 58000018
	ds_read_b128 a[92:95], v24 offset:320                      // 000000003288: DBFE0140 5C000018
	ds_read_b128 a[96:99], v24 offset:384                      // 000000003290: DBFE0180 60000018
	ds_read_b128 a[100:103], v24 offset:448                    // 000000003298: DBFE01C0 64000018

00000000000032a0 <label_03E8>:
	s_waitcnt lgkmcnt(0)                                       // 0000000032A0: BF8CC07F
	s_barrier                                                  // 0000000032A4: BF8A0000
	s_cmp_lt_u32 s71, 1                                        // 0000000032A8: BF0A8147
	s_cbranch_scc1 label_120D                                  // 0000000032AC: BF850E21
	s_cmp_lt_i32 s7, 2                                         // 0000000032B0: BF048207
	s_cbranch_scc0 label_0AFE                                  // 0000000032B4: BF840710

00000000000032b8 <label_03EE>:
	s_waitcnt vmcnt(16) lgkmcnt(0)                             // 0000000032B8: BF8C4070
	s_barrier                                                  // 0000000032BC: BF8A0000
	v_mfma_f32_16x16x32_fp8_fp8 v[82:85], a[72:73], a[0:1], 0  // 0000000032C0: D3F30052 1A020148
	ds_write_b32 v22, v186                                     // 0000000032C8: D81A0000 0000BA16
	ds_write_b32 v22, v187 offset:64                           // 0000000032D0: D81A0040 0000BB16
	v_mfma_f32_16x16x32_fp8_fp8 v[82:85], a[74:75], a[2:3], v[82:85]// 0000000032D8: D3F30052 1D4A054A
	buffer_load_dword v26, v28, s[24:27], 0 offen              // 0000000032E0: E0501000 80061A1C
	v_mfma_f32_16x16x32_fp8_fp8 v[82:85], a[76:77], a[4:5], v[82:85]// 0000000032E8: D3F30052 1D4A094C
	ds_write_b32 v22, v188 offset:4128                         // 0000000032F0: D81A1020 0000BC16
	ds_write_b32 v22, v189 offset:4192                         // 0000000032F8: D81A1060 0000BD16
	v_mfma_f32_16x16x32_fp8_fp8 v[82:85], a[78:79], a[6:7], v[82:85]// 000000003300: D3F30052 1D4A0D4E
	v_mfma_f32_16x16x32_fp8_fp8 v[82:85], a[80:81], a[8:9], v[82:85]// 000000003308: D3F30052 1D4A1150
	ds_write_b32 v22, v190 offset:8256                         // 000000003310: D81A2040 0000BE16
	ds_write_b32 v22, v191 offset:8320                         // 000000003318: D81A2080 0000BF16
	v_mfma_f32_16x16x32_fp8_fp8 v[82:85], a[82:83], a[10:11], v[82:85]// 000000003320: D3F30052 1D4A1552
	v_mfma_f32_16x16x32_fp8_fp8 v[82:85], a[84:85], a[12:13], v[82:85]// 000000003328: D3F30052 1D4A1954
	ds_write_b32 v22, v192 offset:12384                        // 000000003330: D81A3060 0000C016
	ds_write_b32 v22, v193 offset:12448                        // 000000003338: D81A30A0 0000C116
	v_mfma_f32_16x16x32_fp8_fp8 v[82:85], a[86:87], a[14:15], v[82:85]// 000000003340: D3F30052 1D4A1D56
	v_mfma_f32_16x16x32_fp8_fp8 v[82:85], a[88:89], a[16:17], v[82:85]// 000000003348: D3F30052 1D4A2158
	ds_write_b32 v22, v194 offset:512                          // 000000003350: D81A0200 0000C216
	ds_write_b32 v22, v195 offset:576                          // 000000003358: D81A0240 0000C316
	v_mfma_f32_16x16x32_fp8_fp8 v[82:85], a[90:91], a[18:19], v[82:85]// 000000003360: D3F30052 1D4A255A
	v_mfma_f32_16x16x32_fp8_fp8 v[82:85], a[92:93], a[20:21], v[82:85]// 000000003368: D3F30052 1D4A295C
	ds_write_b32 v22, v196 offset:4640                         // 000000003370: D81A1220 0000C416
	ds_write_b32 v22, v197 offset:4704                         // 000000003378: D81A1260 0000C516
	v_mfma_f32_16x16x32_fp8_fp8 v[82:85], a[94:95], a[22:23], v[82:85]// 000000003380: D3F30052 1D4A2D5E
	v_mfma_f32_16x16x32_fp8_fp8 v[82:85], a[96:97], a[24:25], v[82:85]// 000000003388: D3F30052 1D4A3160
	ds_write_b32 v22, v198 offset:8768                         // 000000003390: D81A2240 0000C616
	ds_write_b32 v22, v199 offset:8832                         // 000000003398: D81A2280 0000C716
	v_mfma_f32_16x16x32_fp8_fp8 v[82:85], a[98:99], a[26:27], v[82:85]// 0000000033A0: D3F30052 1D4A3562
	v_mfma_f32_16x16x32_fp8_fp8 v[82:85], a[100:101], a[28:29], v[82:85]// 0000000033A8: D3F30052 1D4A3964
	ds_write_b32 v22, v200 offset:12896                        // 0000000033B0: D81A3260 0000C816
	ds_write_b32 v22, v201 offset:12960                        // 0000000033B8: D81A32A0 0000C916
	v_mfma_f32_16x16x32_fp8_fp8 v[82:85], a[102:103], a[30:31], v[82:85]// 0000000033C0: D3F30052 1D4A3D66
	v_mfma_f32_16x16x32_fp8_fp8 v[82:85], a[104:105], a[32:33], v[82:85]// 0000000033C8: D3F30052 1D4A4168
	ds_write_b32 v23, v78 offset:16512                         // 0000000033D0: D81A4080 00004E17
	ds_write_b32 v23, v79 offset:16584                         // 0000000033D8: D81A40C8 00004F17
	v_mfma_f32_16x16x32_fp8_fp8 v[82:85], a[106:107], a[34:35], v[82:85]// 0000000033E0: D3F30052 1D4A456A
	buffer_load_dword v74, v38, s[20:23], 0 offen              // 0000000033E8: E0501000 80054A26
	buffer_load_dword v75, v39, s[20:23], 0 offen              // 0000000033F0: E0501000 80054B27
	v_add_u32_e32 v28, s73, v28                                // 0000000033F8: 68383849
	v_mfma_f32_16x16x32_fp8_fp8 v[86:89], a[72:73], a[36:37], 0// 0000000033FC: D3F30056 1A024948
	v_mfma_f32_16x16x32_fp8_fp8 v[86:89], a[74:75], a[38:39], v[86:89]// 000000003404: D3F30056 1D5A4D4A
	v_mfma_f32_16x16x32_fp8_fp8 v[86:89], a[76:77], a[40:41], v[86:89]// 00000000340C: D3F30056 1D5A514C
	v_mfma_f32_16x16x32_fp8_fp8 v[86:89], a[78:79], a[42:43], v[86:89]// 000000003414: D3F30056 1D5A554E
	v_mfma_f32_16x16x32_fp8_fp8 v[86:89], a[80:81], a[44:45], v[86:89]// 00000000341C: D3F30056 1D5A5950
	v_mfma_f32_16x16x32_fp8_fp8 v[86:89], a[82:83], a[46:47], v[86:89]// 000000003424: D3F30056 1D5A5D52
	v_mfma_f32_16x16x32_fp8_fp8 v[86:89], a[84:85], a[48:49], v[86:89]// 00000000342C: D3F30056 1D5A6154
	buffer_load_dword v76, v40, s[20:23], 0 offen              // 000000003434: E0501000 80054C28
	buffer_load_dword v77, v41, s[20:23], 0 offen              // 00000000343C: E0501000 80054D29
	v_mfma_f32_16x16x32_fp8_fp8 v[86:89], a[86:87], a[50:51], v[86:89]// 000000003444: D3F30056 1D5A6556
	ds_write_b32 v23, v80 offset:16656                         // 00000000344C: D81A4110 00005017
	ds_write_b32 v23, v81 offset:16728                         // 000000003454: D81A4158 00005117
	v_mfma_f32_16x16x32_fp8_fp8 v[86:89], a[88:89], a[52:53], v[86:89]// 00000000345C: D3F30056 1D5A6958
	s_waitcnt lgkmcnt(4)                                       // 000000003464: BF8CC47F
	s_barrier                                                  // 000000003468: BF8A0000
	ds_read_b128 a[72:75], v24                                 // 00000000346C: DBFE0000 48000018
	v_mfma_f32_16x16x32_fp8_fp8 v[86:89], a[90:91], a[54:55], v[86:89]// 000000003474: D3F30056 1D5A6D5A
	ds_read_b128 a[76:79], v24 offset:64                       // 00000000347C: DBFE0040 4C000018
	v_mfma_f32_16x16x32_fp8_fp8 v[86:89], a[92:93], a[56:57], v[86:89]// 000000003484: D3F30056 1D5A715C
	ds_read_b128 a[80:83], v24 offset:128                      // 00000000348C: DBFE0080 50000018
	v_mfma_f32_16x16x32_fp8_fp8 v[86:89], a[94:95], a[58:59], v[86:89]// 000000003494: D3F30056 1D5A755E
	ds_read_b128 a[84:87], v24 offset:192                      // 00000000349C: DBFE00C0 54000018
	v_mfma_f32_16x16x32_fp8_fp8 v[86:89], a[96:97], a[60:61], v[86:89]// 0000000034A4: D3F30056 1D5A7960
	ds_read_b128 a[88:91], v24 offset:256                      // 0000000034AC: DBFE0100 58000018
	v_mfma_f32_16x16x32_fp8_fp8 v[86:89], a[98:99], a[62:63], v[86:89]// 0000000034B4: D3F30056 1D5A7D62
	ds_read_b128 a[92:95], v24 offset:320                      // 0000000034BC: DBFE0140 5C000018
	v_mfma_f32_16x16x32_fp8_fp8 v[86:89], a[100:101], a[64:65], v[86:89]// 0000000034C4: D3F30056 1D5A8164
	ds_read_b128 a[96:99], v24 offset:384                      // 0000000034CC: DBFE0180 60000018
	v_mfma_f32_16x16x32_fp8_fp8 v[86:89], a[102:103], a[66:67], v[86:89]// 0000000034D4: D3F30056 1D5A8566
	ds_read_b128 a[100:103], v24 offset:448                    // 0000000034DC: DBFE01C0 64000018
	v_mfma_f32_16x16x32_fp8_fp8 v[86:89], a[104:105], a[68:69], v[86:89]// 0000000034E4: D3F30056 1D5A8968
	v_mfma_f32_16x16x32_fp8_fp8 v[86:89], a[106:107], a[70:71], v[86:89]// 0000000034EC: D3F30056 1D5A8D6A
	s_cmp_le_i32 s83, s82                                      // 0000000034F4: BF055253
	s_cbranch_scc1 label_04A2                                  // 0000000034F8: BF850023
	s_add_u32 s57, s82, 0                                      // 0000000034FC: 80398052
	v_mov_b32_e32 v38, s57                                     // 000000003500: 7E4C0239
	s_sub_u32 s56, s83, 63                                     // 000000003504: 80B8BF53
	s_mul_i32 s57, s7, 16                                      // 000000003508: 92399007
	v_lshrrev_b32_e32 v47, 4, v0                               // 00000000350C: 205E0084
	v_mul_i32_i24_e32 v47, 4, v47                              // 000000003510: 0C5E5E84
	v_add_u32_e32 v47, s56, v47                                // 000000003514: 685E5E38
	v_add_u32_e32 v47, s57, v47                                // 000000003518: 685E5E39
	v_add_u32_e32 v48, 1, v47                                  // 00000000351C: 68605E81
	v_add_u32_e32 v49, 2, v47                                  // 000000003520: 68625E82
	v_add_u32_e32 v50, 3, v47                                  // 000000003524: 68645E83
	v_cmp_le_u32_e64 s[34:35], v47, v38                        // 000000003528: D0CB0022 00024D2F
	v_add_u32_e32 v47, 64, v47                                 // 000000003530: 685E5EC0
	s_nop 0                                                    // 000000003534: BF800000
	v_cndmask_b32_e64 v82, v11, v82, s[34:35]                  // 000000003538: D1000052 008AA50B
	v_cmp_le_u32_e64 s[34:35], v48, v38                        // 000000003540: D0CB0022 00024D30
	v_add_u32_e32 v48, 64, v48                                 // 000000003548: 686060C0
	s_nop 0                                                    // 00000000354C: BF800000
	v_cndmask_b32_e64 v83, v11, v83, s[34:35]                  // 000000003550: D1000053 008AA70B
	v_cmp_le_u32_e64 s[34:35], v49, v38                        // 000000003558: D0CB0022 00024D31
	v_add_u32_e32 v49, 64, v49                                 // 000000003560: 686262C0
	s_nop 0                                                    // 000000003564: BF800000
	v_cndmask_b32_e64 v84, v11, v84, s[34:35]                  // 000000003568: D1000054 008AA90B
	v_cmp_le_u32_e64 s[34:35], v50, v38                        // 000000003570: D0CB0022 00024D32
	v_add_u32_e32 v50, 64, v50                                 // 000000003578: 686464C0
	s_nop 0                                                    // 00000000357C: BF800000
	v_cndmask_b32_e64 v85, v11, v85, s[34:35]                  // 000000003580: D1000055 008AAB0B

0000000000003588 <label_04A2>:
	v_mov_b32_e32 v8, v82                                      // 000000003588: 7E100352
	v_max3_f32 v8, v82, v83, v8                                // 00000000358C: D1D30008 0422A752
	v_max3_f32 v8, v84, v85, v8                                // 000000003594: D1D30008 0422AB54
	ds_write_b32 v5, v8 offset:21120                           // 00000000359C: D81A5280 00000805
	v_perm_b32 v34, v156, v154, s54                            // 0000000035A4: D1ED0022 00DB359C
	v_perm_b32 v35, v156, v154, s55                            // 0000000035AC: D1ED0023 00DF359C
	v_perm_b32 v36, v160, v158, s54                            // 0000000035B4: D1ED0024 00DB3DA0
	v_perm_b32 v37, v160, v158, s55                            // 0000000035BC: D1ED0025 00DF3DA0
	v_perm_b32 v218, v36, v34, s53                             // 0000000035C4: D1ED00DA 00D64524
	v_perm_b32 v219, v36, v34, s52                             // 0000000035CC: D1ED00DB 00D24524
	v_perm_b32 v220, v37, v35, s53                             // 0000000035D4: D1ED00DC 00D64725
	v_perm_b32 v221, v37, v35, s52                             // 0000000035DC: D1ED00DD 00D24725
	v_accvgpr_write_b32 a108, v218                             // 0000000035E4: D3D9406C 180001DA
	v_accvgpr_write_b32 a112, v219                             // 0000000035EC: D3D94070 180001DB
	v_accvgpr_write_b32 a116, v220                             // 0000000035F4: D3D94074 180001DC
	v_accvgpr_write_b32 a120, v221                             // 0000000035FC: D3D94078 180001DD
	v_perm_b32 v34, v157, v155, s54                            // 000000003604: D1ED0022 00DB379D
	v_perm_b32 v35, v157, v155, s55                            // 00000000360C: D1ED0023 00DF379D
	v_perm_b32 v36, v161, v159, s54                            // 000000003614: D1ED0024 00DB3FA1
	v_perm_b32 v37, v161, v159, s55                            // 00000000361C: D1ED0025 00DF3FA1
	v_perm_b32 v218, v36, v34, s53                             // 000000003624: D1ED00DA 00D64524
	v_perm_b32 v219, v36, v34, s52                             // 00000000362C: D1ED00DB 00D24524
	v_perm_b32 v220, v37, v35, s53                             // 000000003634: D1ED00DC 00D64725
	v_perm_b32 v221, v37, v35, s52                             // 00000000363C: D1ED00DD 00D24725
	v_accvgpr_write_b32 a124, v218                             // 000000003644: D3D9407C 180001DA
	v_accvgpr_write_b32 a128, v219                             // 00000000364C: D3D94080 180001DB
	v_accvgpr_write_b32 a132, v220                             // 000000003654: D3D94084 180001DC
	v_accvgpr_write_b32 a136, v221                             // 00000000365C: D3D94088 180001DD
	s_waitcnt lgkmcnt(0)                                       // 000000003664: BF8CC07F
	s_barrier                                                  // 000000003668: BF8A0000
	v_perm_b32 v34, v164, v162, s54                            // 00000000366C: D1ED0022 00DB45A4
	v_perm_b32 v35, v164, v162, s55                            // 000000003674: D1ED0023 00DF45A4
	v_perm_b32 v36, v168, v166, s54                            // 00000000367C: D1ED0024 00DB4DA8
	v_perm_b32 v37, v168, v166, s55                            // 000000003684: D1ED0025 00DF4DA8
	v_perm_b32 v218, v36, v34, s53                             // 00000000368C: D1ED00DA 00D64524
	v_perm_b32 v219, v36, v34, s52                             // 000000003694: D1ED00DB 00D24524
	v_perm_b32 v220, v37, v35, s53                             // 00000000369C: D1ED00DC 00D64725
	v_perm_b32 v221, v37, v35, s52                             // 0000000036A4: D1ED00DD 00D24725
	v_accvgpr_write_b32 a109, v218                             // 0000000036AC: D3D9406D 180001DA
	v_accvgpr_write_b32 a113, v219                             // 0000000036B4: D3D94071 180001DB
	v_accvgpr_write_b32 a117, v220                             // 0000000036BC: D3D94075 180001DC
	v_accvgpr_write_b32 a121, v221                             // 0000000036C4: D3D94079 180001DD
	ds_read_b32 v58, v4 offset:21120                           // 0000000036CC: D86C5280 3A000004
	buffer_load_dword v154, v42, s[20:23], 0 offen             // 0000000036D4: E0501000 80059A2A
	buffer_load_dword v155, v42, s[20:23], 0 offen offset:64   // 0000000036DC: E0501040 80059B2A
	ds_read_b32 v59, v4 offset:21184                           // 0000000036E4: D86C52C0 3B000004
	ds_read_b32 v60, v4 offset:21248                           // 0000000036EC: D86C5300 3C000004
	ds_read_b32 v61, v4 offset:21312                           // 0000000036F4: D86C5340 3D000004
	ds_read_b32 v62, v4 offset:21376                           // 0000000036FC: D86C5380 3E000004
	ds_read_b32 v63, v4 offset:21440                           // 000000003704: D86C53C0 3F000004
	ds_read_b32 v64, v4 offset:21504                           // 00000000370C: D86C5400 40000004
	ds_read_b32 v65, v4 offset:21568                           // 000000003714: D86C5440 41000004
	ds_read_b32 v66, v4 offset:21632                           // 00000000371C: D86C5480 42000004
	buffer_load_dword v156, v43, s[20:23], 0 offen             // 000000003724: E0501000 80059C2B
	buffer_load_dword v157, v43, s[20:23], 0 offen offset:64   // 00000000372C: E0501040 80059D2B
	ds_read_b32 v67, v4 offset:21696                           // 000000003734: D86C54C0 43000004
	ds_read_b32 v68, v4 offset:21760                           // 00000000373C: D86C5500 44000004
	ds_read_b32 v69, v4 offset:21824                           // 000000003744: D86C5540 45000004
	ds_read_b32 v70, v4 offset:21888                           // 00000000374C: D86C5580 46000004
	ds_read_b32 v71, v4 offset:21952                           // 000000003754: D86C55C0 47000004
	ds_read_b32 v72, v4 offset:22016                           // 00000000375C: D86C5600 48000004
	ds_read_b32 v73, v4 offset:22080                           // 000000003764: D86C5640 49000004
	buffer_load_dword v158, v44, s[20:23], 0 offen             // 00000000376C: E0501000 80059E2C
	buffer_load_dword v159, v44, s[20:23], 0 offen offset:64   // 000000003774: E0501040 80059F2C
	v_perm_b32 v34, v165, v163, s54                            // 00000000377C: D1ED0022 00DB47A5
	v_perm_b32 v35, v165, v163, s55                            // 000000003784: D1ED0023 00DF47A5
	v_perm_b32 v36, v169, v167, s54                            // 00000000378C: D1ED0024 00DB4FA9
	v_perm_b32 v37, v169, v167, s55                            // 000000003794: D1ED0025 00DF4FA9
	v_perm_b32 v218, v36, v34, s53                             // 00000000379C: D1ED00DA 00D64524
	v_perm_b32 v219, v36, v34, s52                             // 0000000037A4: D1ED00DB 00D24524
	v_perm_b32 v220, v37, v35, s53                             // 0000000037AC: D1ED00DC 00D64725
	v_perm_b32 v221, v37, v35, s52                             // 0000000037B4: D1ED00DD 00D24725
	v_accvgpr_write_b32 a125, v218                             // 0000000037BC: D3D9407D 180001DA
	v_accvgpr_write_b32 a129, v219                             // 0000000037C4: D3D94081 180001DB
	v_accvgpr_write_b32 a133, v220                             // 0000000037CC: D3D94085 180001DC
	v_accvgpr_write_b32 a137, v221                             // 0000000037D4: D3D94089 180001DD
	s_waitcnt lgkmcnt(0)                                       // 0000000037DC: BF8CC07F
	v_max3_f32 v8, v58, v59, v8                                // 0000000037E0: D1D30008 0422773A
	v_max3_f32 v8, v60, v61, v8                                // 0000000037E8: D1D30008 04227B3C
	v_max3_f32 v8, v62, v63, v8                                // 0000000037F0: D1D30008 04227F3E
	v_max3_f32 v8, v64, v65, v8                                // 0000000037F8: D1D30008 04228340
	v_max3_f32 v8, v66, v67, v8                                // 000000003800: D1D30008 04228742
	v_max3_f32 v8, v68, v69, v8                                // 000000003808: D1D30008 04228B44
	v_max3_f32 v8, v70, v71, v8                                // 000000003810: D1D30008 04228F46
	v_max3_f32 v8, v72, v73, v8                                // 000000003818: D1D30008 04229348
	buffer_load_dword v160, v45, s[20:23], 0 offen             // 000000003820: E0501000 8005A02D
	buffer_load_dword v161, v45, s[20:23], 0 offen offset:64   // 000000003828: E0501040 8005A12D
	v_cmp_eq_u32_e64 s[34:35], v11, v12                        // 000000003830: D0CA0022 0002190B
	v_max_f32_e32 v14, v8, v12                                 // 000000003838: 161C1908
	v_sub_f32_e32 v20, v12, v14                                // 00000000383C: 04281D0C
	v_cndmask_b32_e64 v20, v20, 0, s[34:35]                    // 000000003840: D1000014 00890114
	v_mov_b32_e32 v12, v14                                     // 000000003848: 7E18030E
	v_mul_f32_e32 v9, s5, v14                                  // 00000000384C: 0A121C05
	v_mul_f32_e32 v20, s5, v20                                 // 000000003850: 0A282805
	v_exp_f32_e32 v20, v20                                     // 000000003854: 7E284114
	buffer_load_dword v162, v46, s[20:23], 0 offen             // 000000003858: E0501000 8005A22E
	buffer_load_dword v163, v46, s[20:23], 0 offen offset:64   // 000000003860: E0501040 8005A32E
	v_fma_f32 v82, v82, s5, -v9                                // 000000003868: D1CB0052 84240B52
	v_fma_f32 v83, v83, s5, -v9                                // 000000003870: D1CB0053 84240B53
	v_fma_f32 v84, v84, s5, -v9                                // 000000003878: D1CB0054 84240B54
	v_fma_f32 v85, v85, s5, -v9                                // 000000003880: D1CB0055 84240B55
	v_exp_f32_e32 v82, v82                                     // 000000003888: 7EA44152
	v_exp_f32_e32 v83, v83                                     // 00000000388C: 7EA64153
	v_exp_f32_e32 v84, v84                                     // 000000003890: 7EA84154
	v_exp_f32_e32 v85, v85                                     // 000000003894: 7EAA4155
	buffer_load_dword v164, v47, s[20:23], 0 offen             // 000000003898: E0501000 8005A42F
	buffer_load_dword v165, v47, s[20:23], 0 offen offset:64   // 0000000038A0: E0501040 8005A52F
	v_mul_f32_e32 v15, v20, v15                                // 0000000038A8: 0A1E1F14
	v_mov_b32_e32 v17, v82                                     // 0000000038AC: 7E220352
	v_add_f32_e32 v17, v83, v17                                // 0000000038B0: 02222353
	v_add_f32_e32 v17, v84, v17                                // 0000000038B4: 02222354
	v_add_f32_e32 v17, v85, v17                                // 0000000038B8: 02222355
	v_add_f32_e32 v15, v17, v15                                // 0000000038BC: 021E1F11
	buffer_load_dword v166, v48, s[20:23], 0 offen             // 0000000038C0: E0501000 8005A630
	buffer_load_dword v167, v48, s[20:23], 0 offen offset:64   // 0000000038C8: E0501040 8005A730
	v_cvt_pk_fp8_f32 v82, v82, v83                             // 0000000038D0: D2A20052 0002A752
	v_cvt_pk_fp8_f32 v82, v84, v85 op_sel:[0,0,1]              // 0000000038D8: D2A24052 0002AB54
	ds_write_b32 v7, v82                                       // 0000000038E0: D81A0000 00005207
	buffer_load_dword v168, v49, s[20:23], 0 offen             // 0000000038E8: E0501000 8005A831
	buffer_load_dword v169, v49, s[20:23], 0 offen offset:64   // 0000000038F0: E0501040 8005A931
	s_waitcnt lgkmcnt(0)                                       // 0000000038F8: BF8CC07F
	s_barrier                                                  // 0000000038FC: BF8A0000
	ds_read_b64 v[82:83], v6                                   // 000000003900: D8EC0000 52000006
	ds_read_b64 v[84:85], v6 offset:32                         // 000000003908: D8EC0020 54000006
	v_mov_b32_e32 v34, v20                                     // 000000003910: 7E440314
	v_mov_b32_e32 v35, v20                                     // 000000003914: 7E460314
	v_pk_mul_f32 v[90:91], v[34:35], v[90:91]                  // 000000003918: D3B1405A 1802B522
	v_pk_mul_f32 v[92:93], v[34:35], v[92:93]                  // 000000003920: D3B1405C 1802B922
	v_pk_mul_f32 v[94:95], v[34:35], v[94:95]                  // 000000003928: D3B1405E 1802BD22
	v_pk_mul_f32 v[96:97], v[34:35], v[96:97]                  // 000000003930: D3B14060 1802C122
	v_pk_mul_f32 v[98:99], v[34:35], v[98:99]                  // 000000003938: D3B14062 1802C522
	v_pk_mul_f32 v[100:101], v[34:35], v[100:101]              // 000000003940: D3B14064 1802C922
	v_pk_mul_f32 v[102:103], v[34:35], v[102:103]              // 000000003948: D3B14066 1802CD22
	v_pk_mul_f32 v[104:105], v[34:35], v[104:105]              // 000000003950: D3B14068 1802D122
	v_pk_mul_f32 v[106:107], v[34:35], v[106:107]              // 000000003958: D3B1406A 1802D522
	v_pk_mul_f32 v[108:109], v[34:35], v[108:109]              // 000000003960: D3B1406C 1802D922
	v_pk_mul_f32 v[110:111], v[34:35], v[110:111]              // 000000003968: D3B1406E 1802DD22
	v_pk_mul_f32 v[112:113], v[34:35], v[112:113]              // 000000003970: D3B14070 1802E122
	v_pk_mul_f32 v[114:115], v[34:35], v[114:115]              // 000000003978: D3B14072 1802E522
	v_pk_mul_f32 v[116:117], v[34:35], v[116:117]              // 000000003980: D3B14074 1802E922
	v_pk_mul_f32 v[118:119], v[34:35], v[118:119]              // 000000003988: D3B14076 1802ED22
	v_pk_mul_f32 v[120:121], v[34:35], v[120:121]              // 000000003990: D3B14078 1802F122
	s_waitcnt lgkmcnt(0)                                       // 000000003998: BF8CC07F
	s_cmp_le_i32 s83, s82                                      // 00000000399C: BF055253
	s_cbranch_scc1 label_05CC                                  // 0000000039A0: BF850023
	s_add_u32 s57, s82, 1                                      // 0000000039A4: 80398152
	v_mov_b32_e32 v38, s57                                     // 0000000039A8: 7E4C0239
	s_sub_u32 s56, s83, 63                                     // 0000000039AC: 80B8BF53
	s_mul_i32 s57, s7, 16                                      // 0000000039B0: 92399007
	v_lshrrev_b32_e32 v47, 4, v0                               // 0000000039B4: 205E0084
	v_mul_i32_i24_e32 v47, 4, v47                              // 0000000039B8: 0C5E5E84
	v_add_u32_e32 v47, s56, v47                                // 0000000039BC: 685E5E38
	v_add_u32_e32 v47, s57, v47                                // 0000000039C0: 685E5E39
	v_add_u32_e32 v48, 1, v47                                  // 0000000039C4: 68605E81
	v_add_u32_e32 v49, 2, v47                                  // 0000000039C8: 68625E82
	v_add_u32_e32 v50, 3, v47                                  // 0000000039CC: 68645E83
	v_cmp_le_u32_e64 s[34:35], v47, v38                        // 0000000039D0: D0CB0022 00024D2F
	v_add_u32_e32 v47, 64, v47                                 // 0000000039D8: 685E5EC0
	s_nop 0                                                    // 0000000039DC: BF800000
	v_cndmask_b32_e64 v86, v11, v86, s[34:35]                  // 0000000039E0: D1000056 008AAD0B
	v_cmp_le_u32_e64 s[34:35], v48, v38                        // 0000000039E8: D0CB0022 00024D30
	v_add_u32_e32 v48, 64, v48                                 // 0000000039F0: 686060C0
	s_nop 0                                                    // 0000000039F4: BF800000
	v_cndmask_b32_e64 v87, v11, v87, s[34:35]                  // 0000000039F8: D1000057 008AAF0B
	v_cmp_le_u32_e64 s[34:35], v49, v38                        // 000000003A00: D0CB0022 00024D31
	v_add_u32_e32 v49, 64, v49                                 // 000000003A08: 686262C0
	s_nop 0                                                    // 000000003A0C: BF800000
	v_cndmask_b32_e64 v88, v11, v88, s[34:35]                  // 000000003A10: D1000058 008AB10B
	v_cmp_le_u32_e64 s[34:35], v50, v38                        // 000000003A18: D0CB0022 00024D32
	v_add_u32_e32 v50, 64, v50                                 // 000000003A20: 686464C0
	s_nop 0                                                    // 000000003A24: BF800000
	v_cndmask_b32_e64 v89, v11, v89, s[34:35]                  // 000000003A28: D1000059 008AB30B

0000000000003a30 <label_05CC>:
	s_add_u32 s83, s84, s83                                    // 000000003A30: 80535354
	v_mov_b32_e32 v8, v86                                      // 000000003A34: 7E100356
	v_max3_f32 v8, v86, v87, v8                                // 000000003A38: D1D30008 0422AF56
	v_max3_f32 v8, v88, v89, v8                                // 000000003A40: D1D30008 0422B358
	ds_write_b32 v5, v8 offset:21120                           // 000000003A48: D81A5280 00000805
	v_perm_b32 v34, v172, v170, s54                            // 000000003A50: D1ED0022 00DB55AC
	v_perm_b32 v35, v172, v170, s55                            // 000000003A58: D1ED0023 00DF55AC
	v_perm_b32 v36, v176, v174, s54                            // 000000003A60: D1ED0024 00DB5DB0
	v_perm_b32 v37, v176, v174, s55                            // 000000003A68: D1ED0025 00DF5DB0
	v_perm_b32 v218, v36, v34, s53                             // 000000003A70: D1ED00DA 00D64524
	v_perm_b32 v219, v36, v34, s52                             // 000000003A78: D1ED00DB 00D24524
	v_perm_b32 v220, v37, v35, s53                             // 000000003A80: D1ED00DC 00D64725
	v_perm_b32 v221, v37, v35, s52                             // 000000003A88: D1ED00DD 00D24725
	v_accvgpr_write_b32 a110, v218                             // 000000003A90: D3D9406E 180001DA
	v_accvgpr_write_b32 a114, v219                             // 000000003A98: D3D94072 180001DB
	v_accvgpr_write_b32 a118, v220                             // 000000003AA0: D3D94076 180001DC
	v_accvgpr_write_b32 a122, v221                             // 000000003AA8: D3D9407A 180001DD
	v_perm_b32 v34, v173, v171, s54                            // 000000003AB0: D1ED0022 00DB57AD
	v_perm_b32 v35, v173, v171, s55                            // 000000003AB8: D1ED0023 00DF57AD
	v_perm_b32 v36, v177, v175, s54                            // 000000003AC0: D1ED0024 00DB5FB1
	v_perm_b32 v37, v177, v175, s55                            // 000000003AC8: D1ED0025 00DF5FB1
	v_perm_b32 v218, v36, v34, s53                             // 000000003AD0: D1ED00DA 00D64524
	v_perm_b32 v219, v36, v34, s52                             // 000000003AD8: D1ED00DB 00D24524
	v_perm_b32 v220, v37, v35, s53                             // 000000003AE0: D1ED00DC 00D64725
	v_perm_b32 v221, v37, v35, s52                             // 000000003AE8: D1ED00DD 00D24725
	v_accvgpr_write_b32 a126, v218                             // 000000003AF0: D3D9407E 180001DA
	v_accvgpr_write_b32 a130, v219                             // 000000003AF8: D3D94082 180001DB
	v_accvgpr_write_b32 a134, v220                             // 000000003B00: D3D94086 180001DC
	v_accvgpr_write_b32 a138, v221                             // 000000003B08: D3D9408A 180001DD
	s_waitcnt lgkmcnt(0)                                       // 000000003B10: BF8CC07F
	s_barrier                                                  // 000000003B14: BF8A0000
	v_perm_b32 v34, v180, v178, s54                            // 000000003B18: D1ED0022 00DB65B4
	v_perm_b32 v35, v180, v178, s55                            // 000000003B20: D1ED0023 00DF65B4
	v_perm_b32 v36, v184, v182, s54                            // 000000003B28: D1ED0024 00DB6DB8
	v_perm_b32 v37, v184, v182, s55                            // 000000003B30: D1ED0025 00DF6DB8
	v_perm_b32 v218, v36, v34, s53                             // 000000003B38: D1ED00DA 00D64524
	v_perm_b32 v219, v36, v34, s52                             // 000000003B40: D1ED00DB 00D24524
	v_perm_b32 v220, v37, v35, s53                             // 000000003B48: D1ED00DC 00D64725
	v_perm_b32 v221, v37, v35, s52                             // 000000003B50: D1ED00DD 00D24725
	v_accvgpr_write_b32 a111, v218                             // 000000003B58: D3D9406F 180001DA
	v_accvgpr_write_b32 a115, v219                             // 000000003B60: D3D94073 180001DB
	v_accvgpr_write_b32 a119, v220                             // 000000003B68: D3D94077 180001DC
	v_accvgpr_write_b32 a123, v221                             // 000000003B70: D3D9407B 180001DD
	ds_read_b32 v58, v4 offset:21120                           // 000000003B78: D86C5280 3A000004
	buffer_load_dword v170, v50, s[20:23], 0 offen             // 000000003B80: E0501000 8005AA32
	buffer_load_dword v171, v50, s[20:23], 0 offen offset:64   // 000000003B88: E0501040 8005AB32
	ds_read_b32 v59, v4 offset:21184                           // 000000003B90: D86C52C0 3B000004
	ds_read_b32 v60, v4 offset:21248                           // 000000003B98: D86C5300 3C000004
	ds_read_b32 v61, v4 offset:21312                           // 000000003BA0: D86C5340 3D000004
	ds_read_b32 v62, v4 offset:21376                           // 000000003BA8: D86C5380 3E000004
	ds_read_b32 v63, v4 offset:21440                           // 000000003BB0: D86C53C0 3F000004
	ds_read_b32 v64, v4 offset:21504                           // 000000003BB8: D86C5400 40000004
	ds_read_b32 v65, v4 offset:21568                           // 000000003BC0: D86C5440 41000004
	ds_read_b32 v66, v4 offset:21632                           // 000000003BC8: D86C5480 42000004
	buffer_load_dword v172, v51, s[20:23], 0 offen             // 000000003BD0: E0501000 8005AC33
	buffer_load_dword v173, v51, s[20:23], 0 offen offset:64   // 000000003BD8: E0501040 8005AD33
	ds_read_b32 v67, v4 offset:21696                           // 000000003BE0: D86C54C0 43000004
	ds_read_b32 v68, v4 offset:21760                           // 000000003BE8: D86C5500 44000004
	ds_read_b32 v69, v4 offset:21824                           // 000000003BF0: D86C5540 45000004
	ds_read_b32 v70, v4 offset:21888                           // 000000003BF8: D86C5580 46000004
	ds_read_b32 v71, v4 offset:21952                           // 000000003C00: D86C55C0 47000004
	ds_read_b32 v72, v4 offset:22016                           // 000000003C08: D86C5600 48000004
	ds_read_b32 v73, v4 offset:22080                           // 000000003C10: D86C5640 49000004
	buffer_load_dword v174, v52, s[20:23], 0 offen             // 000000003C18: E0501000 8005AE34
	buffer_load_dword v175, v52, s[20:23], 0 offen offset:64   // 000000003C20: E0501040 8005AF34
	v_perm_b32 v34, v181, v179, s54                            // 000000003C28: D1ED0022 00DB67B5
	v_perm_b32 v35, v181, v179, s55                            // 000000003C30: D1ED0023 00DF67B5
	v_perm_b32 v36, v185, v183, s54                            // 000000003C38: D1ED0024 00DB6FB9
	v_perm_b32 v37, v185, v183, s55                            // 000000003C40: D1ED0025 00DF6FB9
	v_perm_b32 v218, v36, v34, s53                             // 000000003C48: D1ED00DA 00D64524
	v_perm_b32 v219, v36, v34, s52                             // 000000003C50: D1ED00DB 00D24524
	v_perm_b32 v220, v37, v35, s53                             // 000000003C58: D1ED00DC 00D64725
	v_perm_b32 v221, v37, v35, s52                             // 000000003C60: D1ED00DD 00D24725
	v_accvgpr_write_b32 a127, v218                             // 000000003C68: D3D9407F 180001DA
	v_accvgpr_write_b32 a131, v219                             // 000000003C70: D3D94083 180001DB
	v_accvgpr_write_b32 a135, v220                             // 000000003C78: D3D94087 180001DC
	v_accvgpr_write_b32 a139, v221                             // 000000003C80: D3D9408B 180001DD
	s_waitcnt lgkmcnt(0)                                       // 000000003C88: BF8CC07F
	v_max3_f32 v8, v58, v59, v8                                // 000000003C8C: D1D30008 0422773A
	v_max3_f32 v8, v60, v61, v8                                // 000000003C94: D1D30008 04227B3C
	v_max3_f32 v8, v62, v63, v8                                // 000000003C9C: D1D30008 04227F3E
	v_max3_f32 v8, v64, v65, v8                                // 000000003CA4: D1D30008 04228340
	v_max3_f32 v8, v66, v67, v8                                // 000000003CAC: D1D30008 04228742
	v_max3_f32 v8, v68, v69, v8                                // 000000003CB4: D1D30008 04228B44
	v_max3_f32 v8, v70, v71, v8                                // 000000003CBC: D1D30008 04228F46
	v_max3_f32 v8, v72, v73, v8                                // 000000003CC4: D1D30008 04229348
	buffer_load_dword v176, v53, s[20:23], 0 offen             // 000000003CCC: E0501000 8005B035
	buffer_load_dword v177, v53, s[20:23], 0 offen offset:64   // 000000003CD4: E0501040 8005B135
	v_cmp_eq_u32_e64 s[34:35], v11, v13                        // 000000003CDC: D0CA0022 00021B0B
	v_max_f32_e32 v14, v8, v13                                 // 000000003CE4: 161C1B08
	v_sub_f32_e32 v21, v13, v14                                // 000000003CE8: 042A1D0D
	v_cndmask_b32_e64 v21, v21, 0, s[34:35]                    // 000000003CEC: D1000015 00890115
	v_mov_b32_e32 v13, v14                                     // 000000003CF4: 7E1A030E
	v_mul_f32_e32 v9, s5, v14                                  // 000000003CF8: 0A121C05
	v_mul_f32_e32 v21, s5, v21                                 // 000000003CFC: 0A2A2A05
	v_exp_f32_e32 v21, v21                                     // 000000003D00: 7E2A4115
	buffer_load_dword v178, v54, s[20:23], 0 offen             // 000000003D04: E0501000 8005B236
	buffer_load_dword v179, v54, s[20:23], 0 offen offset:64   // 000000003D0C: E0501040 8005B336
	v_fma_f32 v86, v86, s5, -v9                                // 000000003D14: D1CB0056 84240B56
	v_fma_f32 v87, v87, s5, -v9                                // 000000003D1C: D1CB0057 84240B57
	v_fma_f32 v88, v88, s5, -v9                                // 000000003D24: D1CB0058 84240B58
	v_fma_f32 v89, v89, s5, -v9                                // 000000003D2C: D1CB0059 84240B59
	v_exp_f32_e32 v86, v86                                     // 000000003D34: 7EAC4156
	v_exp_f32_e32 v87, v87                                     // 000000003D38: 7EAE4157
	v_exp_f32_e32 v88, v88                                     // 000000003D3C: 7EB04158
	v_exp_f32_e32 v89, v89                                     // 000000003D40: 7EB24159
	buffer_load_dword v180, v55, s[20:23], 0 offen             // 000000003D44: E0501000 8005B437
	buffer_load_dword v181, v55, s[20:23], 0 offen offset:64   // 000000003D4C: E0501040 8005B537
	v_mul_f32_e32 v16, v21, v16                                // 000000003D54: 0A202115
	v_mov_b32_e32 v17, v86                                     // 000000003D58: 7E220356
	v_add_f32_e32 v17, v87, v17                                // 000000003D5C: 02222357
	v_add_f32_e32 v17, v88, v17                                // 000000003D60: 02222358
	v_add_f32_e32 v17, v89, v17                                // 000000003D64: 02222359
	v_add_f32_e32 v16, v17, v16                                // 000000003D68: 02202111
	buffer_load_dword v182, v56, s[20:23], 0 offen             // 000000003D6C: E0501000 8005B638
	buffer_load_dword v183, v56, s[20:23], 0 offen offset:64   // 000000003D74: E0501040 8005B738
	v_cvt_pk_fp8_f32 v86, v86, v87                             // 000000003D7C: D2A20056 0002AF56
	v_cvt_pk_fp8_f32 v86, v88, v89 op_sel:[0,0,1]              // 000000003D84: D2A24056 0002B358
	ds_write_b32 v7, v86                                       // 000000003D8C: D81A0000 00005607
	buffer_load_dword v184, v57, s[20:23], 0 offen             // 000000003D94: E0501000 8005B839
	buffer_load_dword v185, v57, s[20:23], 0 offen offset:64   // 000000003D9C: E0501040 8005B939
	v_mov_b32_e32 v34, v21                                     // 000000003DA4: 7E440315
	v_mov_b32_e32 v35, v21                                     // 000000003DA8: 7E460315
	v_pk_mul_f32 v[122:123], v[34:35], v[122:123]              // 000000003DAC: D3B1407A 1802F522
	v_pk_mul_f32 v[124:125], v[34:35], v[124:125]              // 000000003DB4: D3B1407C 1802F922
	v_pk_mul_f32 v[126:127], v[34:35], v[126:127]              // 000000003DBC: D3B1407E 1802FD22
	v_pk_mul_f32 v[128:129], v[34:35], v[128:129]              // 000000003DC4: D3B14080 18030122
	v_pk_mul_f32 v[130:131], v[34:35], v[130:131]              // 000000003DCC: D3B14082 18030522
	v_pk_mul_f32 v[132:133], v[34:35], v[132:133]              // 000000003DD4: D3B14084 18030922
	v_pk_mul_f32 v[134:135], v[34:35], v[134:135]              // 000000003DDC: D3B14086 18030D22
	v_pk_mul_f32 v[136:137], v[34:35], v[136:137]              // 000000003DE4: D3B14088 18031122
	v_pk_mul_f32 v[138:139], v[34:35], v[138:139]              // 000000003DEC: D3B1408A 18031522
	v_pk_mul_f32 v[140:141], v[34:35], v[140:141]              // 000000003DF4: D3B1408C 18031922
	v_pk_mul_f32 v[142:143], v[34:35], v[142:143]              // 000000003DFC: D3B1408E 18031D22
	v_pk_mul_f32 v[144:145], v[34:35], v[144:145]              // 000000003E04: D3B14090 18032122
	v_pk_mul_f32 v[146:147], v[34:35], v[146:147]              // 000000003E0C: D3B14092 18032522
	v_pk_mul_f32 v[148:149], v[34:35], v[148:149]              // 000000003E14: D3B14094 18032922
	v_pk_mul_f32 v[150:151], v[34:35], v[150:151]              // 000000003E1C: D3B14096 18032D22
	v_pk_mul_f32 v[152:153], v[34:35], v[152:153]              // 000000003E24: D3B14098 18033122
	s_waitcnt lgkmcnt(0)                                       // 000000003E2C: BF8CC07F
	s_barrier                                                  // 000000003E30: BF8A0000
	ds_read_b64 v[86:87], v6                                   // 000000003E34: D8EC0000 56000006
	ds_read_b64 v[88:89], v6 offset:32                         // 000000003E3C: D8EC0020 58000006
	v_mul_u32_u24_dpp v42, v27, v10 row_newbcast:0 row_mask:0xf bank_mask:0xf// 000000003E44: 105414FA FF01501B
	v_mul_u32_u24_dpp v43, v27, v10 row_newbcast:1 row_mask:0xf bank_mask:0xf// 000000003E4C: 105614FA FF01511B
	v_mul_u32_u24_dpp v44, v27, v10 row_newbcast:2 row_mask:0xf bank_mask:0xf// 000000003E54: 105814FA FF01521B
	v_mul_u32_u24_dpp v45, v27, v10 row_newbcast:3 row_mask:0xf bank_mask:0xf// 000000003E5C: 105A14FA FF01531B
	v_mul_u32_u24_dpp v46, v27, v10 row_newbcast:4 row_mask:0xf bank_mask:0xf// 000000003E64: 105C14FA FF01541B
	v_mul_u32_u24_dpp v47, v27, v10 row_newbcast:5 row_mask:0xf bank_mask:0xf// 000000003E6C: 105E14FA FF01551B
	v_mul_u32_u24_dpp v48, v27, v10 row_newbcast:6 row_mask:0xf bank_mask:0xf// 000000003E74: 106014FA FF01561B
	v_mul_u32_u24_dpp v49, v27, v10 row_newbcast:7 row_mask:0xf bank_mask:0xf// 000000003E7C: 106214FA FF01571B
	v_mul_u32_u24_dpp v50, v27, v10 row_newbcast:8 row_mask:0xf bank_mask:0xf// 000000003E84: 106414FA FF01581B
	v_mul_u32_u24_dpp v51, v27, v10 row_newbcast:9 row_mask:0xf bank_mask:0xf// 000000003E8C: 106614FA FF01591B
	v_mul_u32_u24_dpp v52, v27, v10 row_newbcast:10 row_mask:0xf bank_mask:0xf// 000000003E94: 106814FA FF015A1B
	v_mul_u32_u24_dpp v53, v27, v10 row_newbcast:11 row_mask:0xf bank_mask:0xf// 000000003E9C: 106A14FA FF015B1B
	v_mul_u32_u24_dpp v54, v27, v10 row_newbcast:12 row_mask:0xf bank_mask:0xf// 000000003EA4: 106C14FA FF015C1B
	v_mul_u32_u24_dpp v55, v27, v10 row_newbcast:13 row_mask:0xf bank_mask:0xf// 000000003EAC: 106E14FA FF015D1B
	v_mul_u32_u24_dpp v56, v27, v10 row_newbcast:14 row_mask:0xf bank_mask:0xf// 000000003EB4: 107014FA FF015E1B
	v_mul_u32_u24_dpp v57, v27, v10 row_newbcast:15 row_mask:0xf bank_mask:0xf// 000000003EBC: 107214FA FF015F1B
	s_mov_b32 s56, m0                                          // 000000003EC4: BEB8007C
	s_set_gpr_idx_on s51, gpr_idx(SRC0)                        // 000000003EC8: BF110133
	v_add_u32_e32 v38, v42, v3                                 // 000000003ECC: 684C072A
	v_add_u32_e32 v39, v43, v3                                 // 000000003ED0: 684E072B
	v_add_u32_e32 v40, v44, v3                                 // 000000003ED4: 6850072C
	v_add_u32_e32 v41, v45, v3                                 // 000000003ED8: 6852072D
	s_set_gpr_idx_off                                          // 000000003EDC: BF9C0000
	s_mov_b32 m0, s56                                          // 000000003EE0: BEFC0038
	v_add_u32_e32 v42, v42, v2                                 // 000000003EE4: 6854052A
	v_add_u32_e32 v43, v43, v2                                 // 000000003EE8: 6856052B
	v_add_u32_e32 v44, v44, v2                                 // 000000003EEC: 6858052C
	v_add_u32_e32 v45, v45, v2                                 // 000000003EF0: 685A052D
	v_add_u32_e32 v46, v46, v2                                 // 000000003EF4: 685C052E
	v_add_u32_e32 v47, v47, v2                                 // 000000003EF8: 685E052F
	v_add_u32_e32 v48, v48, v2                                 // 000000003EFC: 68600530
	v_add_u32_e32 v49, v49, v2                                 // 000000003F00: 68620531
	v_add_u32_e32 v50, v50, v2                                 // 000000003F04: 68640532
	v_add_u32_e32 v51, v51, v2                                 // 000000003F08: 68660533
	v_add_u32_e32 v52, v52, v2                                 // 000000003F0C: 68680534
	v_add_u32_e32 v53, v53, v2                                 // 000000003F10: 686A0535
	v_add_u32_e32 v54, v54, v2                                 // 000000003F14: 686C0536
	v_add_u32_e32 v55, v55, v2                                 // 000000003F18: 686E0537
	v_add_u32_e32 v56, v56, v2                                 // 000000003F1C: 68700538
	v_add_u32_e32 v57, v57, v2                                 // 000000003F20: 68720539
	s_waitcnt lgkmcnt(0)                                       // 000000003F24: BF8CC07F
	s_waitcnt vmcnt(37)                                        // 000000003F28: BF8C8F75
	v_mfma_f32_16x16x32_fp8_fp8 v[90:93], a[108:109], v[82:83], v[90:93]// 000000003F2C: D3F3005A 0D6AA56C
	v_mfma_f32_16x16x32_fp8_fp8 v[90:93], a[110:111], v[84:85], v[90:93]// 000000003F34: D3F3005A 0D6AA96E
	ds_write_b32 v22, v202                                     // 000000003F3C: D81A0000 0000CA16
	ds_write_b32 v22, v203 offset:64                           // 000000003F44: D81A0040 0000CB16
	v_mfma_f32_16x16x32_fp8_fp8 v[94:97], a[112:113], v[82:83], v[94:97]// 000000003F4C: D3F3005E 0D7AA570
	v_mfma_f32_16x16x32_fp8_fp8 v[94:97], a[114:115], v[84:85], v[94:97]// 000000003F54: D3F3005E 0D7AA972
	ds_write_b32 v22, v204 offset:4128                         // 000000003F5C: D81A1020 0000CC16
	ds_write_b32 v22, v205 offset:4192                         // 000000003F64: D81A1060 0000CD16
	v_mfma_f32_16x16x32_fp8_fp8 v[98:101], a[116:117], v[82:83], v[98:101]// 000000003F6C: D3F30062 0D8AA574
	v_mfma_f32_16x16x32_fp8_fp8 v[98:101], a[118:119], v[84:85], v[98:101]// 000000003F74: D3F30062 0D8AA976
	ds_write_b32 v22, v206 offset:8256                         // 000000003F7C: D81A2040 0000CE16
	ds_write_b32 v22, v207 offset:8320                         // 000000003F84: D81A2080 0000CF16
	v_mfma_f32_16x16x32_fp8_fp8 v[102:105], a[120:121], v[82:83], v[102:105]// 000000003F8C: D3F30066 0D9AA578
	v_mfma_f32_16x16x32_fp8_fp8 v[102:105], a[122:123], v[84:85], v[102:105]// 000000003F94: D3F30066 0D9AA97A
	ds_write_b32 v22, v208 offset:12384                        // 000000003F9C: D81A3060 0000D016
	ds_write_b32 v22, v209 offset:12448                        // 000000003FA4: D81A30A0 0000D116
	v_mfma_f32_16x16x32_fp8_fp8 v[106:109], a[124:125], v[82:83], v[106:109]// 000000003FAC: D3F3006A 0DAAA57C
	v_mfma_f32_16x16x32_fp8_fp8 v[106:109], a[126:127], v[84:85], v[106:109]// 000000003FB4: D3F3006A 0DAAA97E
	ds_write_b32 v22, v210 offset:512                          // 000000003FBC: D81A0200 0000D216
	ds_write_b32 v22, v211 offset:576                          // 000000003FC4: D81A0240 0000D316
	v_mfma_f32_16x16x32_fp8_fp8 v[110:113], a[128:129], v[82:83], v[110:113]// 000000003FCC: D3F3006E 0DBAA580
	v_mfma_f32_16x16x32_fp8_fp8 v[110:113], a[130:131], v[84:85], v[110:113]// 000000003FD4: D3F3006E 0DBAA982
	ds_write_b32 v22, v212 offset:4640                         // 000000003FDC: D81A1220 0000D416
	ds_write_b32 v22, v213 offset:4704                         // 000000003FE4: D81A1260 0000D516
	v_mfma_f32_16x16x32_fp8_fp8 v[114:117], a[132:133], v[82:83], v[114:117]// 000000003FEC: D3F30072 0DCAA584
	v_mfma_f32_16x16x32_fp8_fp8 v[114:117], a[134:135], v[84:85], v[114:117]// 000000003FF4: D3F30072 0DCAA986
	ds_write_b32 v22, v214 offset:8768                         // 000000003FFC: D81A2240 0000D616
	ds_write_b32 v22, v215 offset:8832                         // 000000004004: D81A2280 0000D716
	v_mfma_f32_16x16x32_fp8_fp8 v[118:121], a[136:137], v[82:83], v[118:121]// 00000000400C: D3F30076 0DDAA588
	v_mfma_f32_16x16x32_fp8_fp8 v[118:121], a[138:139], v[84:85], v[118:121]// 000000004014: D3F30076 0DDAA98A
	ds_write_b32 v22, v216 offset:12896                        // 00000000401C: D81A3260 0000D816
	ds_write_b32 v22, v217 offset:12960                        // 000000004024: D81A32A0 0000D916
	ds_read_b64 a[104:105], v25 offset:16512                   // 00000000402C: DAEC4080 68000019
	ds_read_b64 a[106:107], v25 offset:16520                   // 000000004034: DAEC4088 6A000019
	v_mfma_f32_16x16x32_fp8_fp8 v[122:125], a[108:109], v[86:87], v[122:125]// 00000000403C: D3F3007A 0DEAAD6C
	v_mfma_f32_16x16x32_fp8_fp8 v[122:125], a[110:111], v[88:89], v[122:125]// 000000004044: D3F3007A 0DEAB16E
	s_waitcnt lgkmcnt(4)                                       // 00000000404C: BF8CC47F
	s_barrier                                                  // 000000004050: BF8A0000
	v_mfma_f32_16x16x32_fp8_fp8 v[126:129], a[112:113], v[86:87], v[126:129]// 000000004054: D3F3007E 0DFAAD70
	v_mfma_f32_16x16x32_fp8_fp8 v[126:129], a[114:115], v[88:89], v[126:129]// 00000000405C: D3F3007E 0DFAB172
	v_mfma_f32_16x16x32_fp8_fp8 v[130:133], a[116:117], v[86:87], v[130:133]// 000000004064: D3F30082 0E0AAD74
	v_mfma_f32_16x16x32_fp8_fp8 v[130:133], a[118:119], v[88:89], v[130:133]// 00000000406C: D3F30082 0E0AB176
	v_mfma_f32_16x16x32_fp8_fp8 v[134:137], a[120:121], v[86:87], v[134:137]// 000000004074: D3F30086 0E1AAD78
	v_mfma_f32_16x16x32_fp8_fp8 v[134:137], a[122:123], v[88:89], v[134:137]// 00000000407C: D3F30086 0E1AB17A
	v_mfma_f32_16x16x32_fp8_fp8 v[138:141], a[124:125], v[86:87], v[138:141]// 000000004084: D3F3008A 0E2AAD7C
	v_mfma_f32_16x16x32_fp8_fp8 v[138:141], a[126:127], v[88:89], v[138:141]// 00000000408C: D3F3008A 0E2AB17E
	v_mfma_f32_16x16x32_fp8_fp8 v[142:145], a[128:129], v[86:87], v[142:145]// 000000004094: D3F3008E 0E3AAD80
	v_mfma_f32_16x16x32_fp8_fp8 v[142:145], a[130:131], v[88:89], v[142:145]// 00000000409C: D3F3008E 0E3AB182
	v_mfma_f32_16x16x32_fp8_fp8 v[146:149], a[132:133], v[86:87], v[146:149]// 0000000040A4: D3F30092 0E4AAD84
	v_mfma_f32_16x16x32_fp8_fp8 v[146:149], a[134:135], v[88:89], v[146:149]// 0000000040AC: D3F30092 0E4AB186
	v_mfma_f32_16x16x32_fp8_fp8 v[150:153], a[136:137], v[86:87], v[150:153]// 0000000040B4: D3F30096 0E5AAD88
	v_mfma_f32_16x16x32_fp8_fp8 v[150:153], a[138:139], v[88:89], v[150:153]// 0000000040BC: D3F30096 0E5AB18A
	s_addk_i32 s70, 0x1                                        // 0000000040C4: B7460001
	s_cmp_lt_i32 s70, s71                                      // 0000000040C8: BF044746
	s_cbranch_scc0 label_0AFB                                  // 0000000040CC: BF840387
	s_waitcnt vmcnt(16) lgkmcnt(0)                             // 0000000040D0: BF8C4070
	s_barrier                                                  // 0000000040D4: BF8A0000
	v_mfma_f32_16x16x32_fp8_fp8 v[82:85], a[72:73], a[0:1], 0  // 0000000040D8: D3F30052 1A020148
	ds_write_b32 v22, v154                                     // 0000000040E0: D81A0000 00009A16
	ds_write_b32 v22, v155 offset:64                           // 0000000040E8: D81A0040 00009B16
	v_mfma_f32_16x16x32_fp8_fp8 v[82:85], a[74:75], a[2:3], v[82:85]// 0000000040F0: D3F30052 1D4A054A
	buffer_load_dword v27, v28, s[24:27], 0 offen              // 0000000040F8: E0501000 80061B1C
	v_mfma_f32_16x16x32_fp8_fp8 v[82:85], a[76:77], a[4:5], v[82:85]// 000000004100: D3F30052 1D4A094C
	ds_write_b32 v22, v156 offset:4128                         // 000000004108: D81A1020 00009C16
	ds_write_b32 v22, v157 offset:4192                         // 000000004110: D81A1060 00009D16
	v_mfma_f32_16x16x32_fp8_fp8 v[82:85], a[78:79], a[6:7], v[82:85]// 000000004118: D3F30052 1D4A0D4E
	v_mfma_f32_16x16x32_fp8_fp8 v[82:85], a[80:81], a[8:9], v[82:85]// 000000004120: D3F30052 1D4A1150
	ds_write_b32 v22, v158 offset:8256                         // 000000004128: D81A2040 00009E16
	ds_write_b32 v22, v159 offset:8320                         // 000000004130: D81A2080 00009F16
	v_mfma_f32_16x16x32_fp8_fp8 v[82:85], a[82:83], a[10:11], v[82:85]// 000000004138: D3F30052 1D4A1552
	v_mfma_f32_16x16x32_fp8_fp8 v[82:85], a[84:85], a[12:13], v[82:85]// 000000004140: D3F30052 1D4A1954
	ds_write_b32 v22, v160 offset:12384                        // 000000004148: D81A3060 0000A016
	ds_write_b32 v22, v161 offset:12448                        // 000000004150: D81A30A0 0000A116
	v_mfma_f32_16x16x32_fp8_fp8 v[82:85], a[86:87], a[14:15], v[82:85]// 000000004158: D3F30052 1D4A1D56
	v_mfma_f32_16x16x32_fp8_fp8 v[82:85], a[88:89], a[16:17], v[82:85]// 000000004160: D3F30052 1D4A2158
	ds_write_b32 v22, v162 offset:512                          // 000000004168: D81A0200 0000A216
	ds_write_b32 v22, v163 offset:576                          // 000000004170: D81A0240 0000A316
	v_mfma_f32_16x16x32_fp8_fp8 v[82:85], a[90:91], a[18:19], v[82:85]// 000000004178: D3F30052 1D4A255A
	v_mfma_f32_16x16x32_fp8_fp8 v[82:85], a[92:93], a[20:21], v[82:85]// 000000004180: D3F30052 1D4A295C
	ds_write_b32 v22, v164 offset:4640                         // 000000004188: D81A1220 0000A416
	ds_write_b32 v22, v165 offset:4704                         // 000000004190: D81A1260 0000A516
	v_mfma_f32_16x16x32_fp8_fp8 v[82:85], a[94:95], a[22:23], v[82:85]// 000000004198: D3F30052 1D4A2D5E
	v_mfma_f32_16x16x32_fp8_fp8 v[82:85], a[96:97], a[24:25], v[82:85]// 0000000041A0: D3F30052 1D4A3160
	ds_write_b32 v22, v166 offset:8768                         // 0000000041A8: D81A2240 0000A616
	ds_write_b32 v22, v167 offset:8832                         // 0000000041B0: D81A2280 0000A716
	v_mfma_f32_16x16x32_fp8_fp8 v[82:85], a[98:99], a[26:27], v[82:85]// 0000000041B8: D3F30052 1D4A3562
	v_mfma_f32_16x16x32_fp8_fp8 v[82:85], a[100:101], a[28:29], v[82:85]// 0000000041C0: D3F30052 1D4A3964
	ds_write_b32 v22, v168 offset:12896                        // 0000000041C8: D81A3260 0000A816
	ds_write_b32 v22, v169 offset:12960                        // 0000000041D0: D81A32A0 0000A916
	v_mfma_f32_16x16x32_fp8_fp8 v[82:85], a[102:103], a[30:31], v[82:85]// 0000000041D8: D3F30052 1D4A3D66
	v_mfma_f32_16x16x32_fp8_fp8 v[82:85], a[104:105], a[32:33], v[82:85]// 0000000041E0: D3F30052 1D4A4168
	ds_write_b32 v23, v74 offset:16512                         // 0000000041E8: D81A4080 00004A17
	ds_write_b32 v23, v75 offset:16584                         // 0000000041F0: D81A40C8 00004B17
	v_mfma_f32_16x16x32_fp8_fp8 v[82:85], a[106:107], a[34:35], v[82:85]// 0000000041F8: D3F30052 1D4A456A
	buffer_load_dword v78, v38, s[20:23], 0 offen              // 000000004200: E0501000 80054E26
	buffer_load_dword v79, v39, s[20:23], 0 offen              // 000000004208: E0501000 80054F27
	v_add_u32_e32 v28, s73, v28                                // 000000004210: 68383849
	v_mfma_f32_16x16x32_fp8_fp8 v[86:89], a[72:73], a[36:37], 0// 000000004214: D3F30056 1A024948
	v_mfma_f32_16x16x32_fp8_fp8 v[86:89], a[74:75], a[38:39], v[86:89]// 00000000421C: D3F30056 1D5A4D4A
	v_mfma_f32_16x16x32_fp8_fp8 v[86:89], a[76:77], a[40:41], v[86:89]// 000000004224: D3F30056 1D5A514C
	v_mfma_f32_16x16x32_fp8_fp8 v[86:89], a[78:79], a[42:43], v[86:89]// 00000000422C: D3F30056 1D5A554E
	v_mfma_f32_16x16x32_fp8_fp8 v[86:89], a[80:81], a[44:45], v[86:89]// 000000004234: D3F30056 1D5A5950
	v_mfma_f32_16x16x32_fp8_fp8 v[86:89], a[82:83], a[46:47], v[86:89]// 00000000423C: D3F30056 1D5A5D52
	v_mfma_f32_16x16x32_fp8_fp8 v[86:89], a[84:85], a[48:49], v[86:89]// 000000004244: D3F30056 1D5A6154
	buffer_load_dword v80, v40, s[20:23], 0 offen              // 00000000424C: E0501000 80055028
	buffer_load_dword v81, v41, s[20:23], 0 offen              // 000000004254: E0501000 80055129
	v_mfma_f32_16x16x32_fp8_fp8 v[86:89], a[86:87], a[50:51], v[86:89]// 00000000425C: D3F30056 1D5A6556
	ds_write_b32 v23, v76 offset:16656                         // 000000004264: D81A4110 00004C17
	ds_write_b32 v23, v77 offset:16728                         // 00000000426C: D81A4158 00004D17
	v_mfma_f32_16x16x32_fp8_fp8 v[86:89], a[88:89], a[52:53], v[86:89]// 000000004274: D3F30056 1D5A6958
	s_waitcnt lgkmcnt(4)                                       // 00000000427C: BF8CC47F
	s_barrier                                                  // 000000004280: BF8A0000
	ds_read_b128 a[72:75], v24                                 // 000000004284: DBFE0000 48000018
	v_mfma_f32_16x16x32_fp8_fp8 v[86:89], a[90:91], a[54:55], v[86:89]// 00000000428C: D3F30056 1D5A6D5A
	ds_read_b128 a[76:79], v24 offset:64                       // 000000004294: DBFE0040 4C000018
	v_mfma_f32_16x16x32_fp8_fp8 v[86:89], a[92:93], a[56:57], v[86:89]// 00000000429C: D3F30056 1D5A715C
	ds_read_b128 a[80:83], v24 offset:128                      // 0000000042A4: DBFE0080 50000018
	v_mfma_f32_16x16x32_fp8_fp8 v[86:89], a[94:95], a[58:59], v[86:89]// 0000000042AC: D3F30056 1D5A755E
	ds_read_b128 a[84:87], v24 offset:192                      // 0000000042B4: DBFE00C0 54000018
	v_mfma_f32_16x16x32_fp8_fp8 v[86:89], a[96:97], a[60:61], v[86:89]// 0000000042BC: D3F30056 1D5A7960
	ds_read_b128 a[88:91], v24 offset:256                      // 0000000042C4: DBFE0100 58000018
	v_mfma_f32_16x16x32_fp8_fp8 v[86:89], a[98:99], a[62:63], v[86:89]// 0000000042CC: D3F30056 1D5A7D62
	ds_read_b128 a[92:95], v24 offset:320                      // 0000000042D4: DBFE0140 5C000018
	v_mfma_f32_16x16x32_fp8_fp8 v[86:89], a[100:101], a[64:65], v[86:89]// 0000000042DC: D3F30056 1D5A8164
	ds_read_b128 a[96:99], v24 offset:384                      // 0000000042E4: DBFE0180 60000018
	v_mfma_f32_16x16x32_fp8_fp8 v[86:89], a[102:103], a[66:67], v[86:89]// 0000000042EC: D3F30056 1D5A8566
	ds_read_b128 a[100:103], v24 offset:448                    // 0000000042F4: DBFE01C0 64000018
	v_mfma_f32_16x16x32_fp8_fp8 v[86:89], a[104:105], a[68:69], v[86:89]// 0000000042FC: D3F30056 1D5A8968
	v_mfma_f32_16x16x32_fp8_fp8 v[86:89], a[106:107], a[70:71], v[86:89]// 000000004304: D3F30056 1D5A8D6A
	s_cmp_le_i32 s83, s82                                      // 00000000430C: BF055253
	s_cbranch_scc1 label_0828                                  // 000000004310: BF850023
	s_add_u32 s57, s82, 0                                      // 000000004314: 80398052
	v_mov_b32_e32 v38, s57                                     // 000000004318: 7E4C0239
	s_sub_u32 s56, s83, 63                                     // 00000000431C: 80B8BF53
	s_mul_i32 s57, s7, 16                                      // 000000004320: 92399007
	v_lshrrev_b32_e32 v47, 4, v0                               // 000000004324: 205E0084
	v_mul_i32_i24_e32 v47, 4, v47                              // 000000004328: 0C5E5E84
	v_add_u32_e32 v47, s56, v47                                // 00000000432C: 685E5E38
	v_add_u32_e32 v47, s57, v47                                // 000000004330: 685E5E39
	v_add_u32_e32 v48, 1, v47                                  // 000000004334: 68605E81
	v_add_u32_e32 v49, 2, v47                                  // 000000004338: 68625E82
	v_add_u32_e32 v50, 3, v47                                  // 00000000433C: 68645E83
	v_cmp_le_u32_e64 s[34:35], v47, v38                        // 000000004340: D0CB0022 00024D2F
	v_add_u32_e32 v47, 64, v47                                 // 000000004348: 685E5EC0
	s_nop 0                                                    // 00000000434C: BF800000
	v_cndmask_b32_e64 v82, v11, v82, s[34:35]                  // 000000004350: D1000052 008AA50B
	v_cmp_le_u32_e64 s[34:35], v48, v38                        // 000000004358: D0CB0022 00024D30
	v_add_u32_e32 v48, 64, v48                                 // 000000004360: 686060C0
	s_nop 0                                                    // 000000004364: BF800000
	v_cndmask_b32_e64 v83, v11, v83, s[34:35]                  // 000000004368: D1000053 008AA70B
	v_cmp_le_u32_e64 s[34:35], v49, v38                        // 000000004370: D0CB0022 00024D31
	v_add_u32_e32 v49, 64, v49                                 // 000000004378: 686262C0
	s_nop 0                                                    // 00000000437C: BF800000
	v_cndmask_b32_e64 v84, v11, v84, s[34:35]                  // 000000004380: D1000054 008AA90B
	v_cmp_le_u32_e64 s[34:35], v50, v38                        // 000000004388: D0CB0022 00024D32
	v_add_u32_e32 v50, 64, v50                                 // 000000004390: 686464C0
	s_nop 0                                                    // 000000004394: BF800000
	v_cndmask_b32_e64 v85, v11, v85, s[34:35]                  // 000000004398: D1000055 008AAB0B

00000000000043a0 <label_0828>:
	v_mov_b32_e32 v8, v82                                      // 0000000043A0: 7E100352
	v_max3_f32 v8, v82, v83, v8                                // 0000000043A4: D1D30008 0422A752
	v_max3_f32 v8, v84, v85, v8                                // 0000000043AC: D1D30008 0422AB54
	ds_write_b32 v5, v8 offset:21120                           // 0000000043B4: D81A5280 00000805
	v_perm_b32 v34, v188, v186, s54                            // 0000000043BC: D1ED0022 00DB75BC
	v_perm_b32 v35, v188, v186, s55                            // 0000000043C4: D1ED0023 00DF75BC
	v_perm_b32 v36, v192, v190, s54                            // 0000000043CC: D1ED0024 00DB7DC0
	v_perm_b32 v37, v192, v190, s55                            // 0000000043D4: D1ED0025 00DF7DC0
	v_perm_b32 v218, v36, v34, s53                             // 0000000043DC: D1ED00DA 00D64524
	v_perm_b32 v219, v36, v34, s52                             // 0000000043E4: D1ED00DB 00D24524
	v_perm_b32 v220, v37, v35, s53                             // 0000000043EC: D1ED00DC 00D64725
	v_perm_b32 v221, v37, v35, s52                             // 0000000043F4: D1ED00DD 00D24725
	v_accvgpr_write_b32 a108, v218                             // 0000000043FC: D3D9406C 180001DA
	v_accvgpr_write_b32 a112, v219                             // 000000004404: D3D94070 180001DB
	v_accvgpr_write_b32 a116, v220                             // 00000000440C: D3D94074 180001DC
	v_accvgpr_write_b32 a120, v221                             // 000000004414: D3D94078 180001DD
	v_perm_b32 v34, v189, v187, s54                            // 00000000441C: D1ED0022 00DB77BD
	v_perm_b32 v35, v189, v187, s55                            // 000000004424: D1ED0023 00DF77BD
	v_perm_b32 v36, v193, v191, s54                            // 00000000442C: D1ED0024 00DB7FC1
	v_perm_b32 v37, v193, v191, s55                            // 000000004434: D1ED0025 00DF7FC1
	v_perm_b32 v218, v36, v34, s53                             // 00000000443C: D1ED00DA 00D64524
	v_perm_b32 v219, v36, v34, s52                             // 000000004444: D1ED00DB 00D24524
	v_perm_b32 v220, v37, v35, s53                             // 00000000444C: D1ED00DC 00D64725
	v_perm_b32 v221, v37, v35, s52                             // 000000004454: D1ED00DD 00D24725
	v_accvgpr_write_b32 a124, v218                             // 00000000445C: D3D9407C 180001DA
	v_accvgpr_write_b32 a128, v219                             // 000000004464: D3D94080 180001DB
	v_accvgpr_write_b32 a132, v220                             // 00000000446C: D3D94084 180001DC
	v_accvgpr_write_b32 a136, v221                             // 000000004474: D3D94088 180001DD
	s_waitcnt lgkmcnt(0)                                       // 00000000447C: BF8CC07F
	s_barrier                                                  // 000000004480: BF8A0000
	v_perm_b32 v34, v196, v194, s54                            // 000000004484: D1ED0022 00DB85C4
	v_perm_b32 v35, v196, v194, s55                            // 00000000448C: D1ED0023 00DF85C4
	v_perm_b32 v36, v200, v198, s54                            // 000000004494: D1ED0024 00DB8DC8
	v_perm_b32 v37, v200, v198, s55                            // 00000000449C: D1ED0025 00DF8DC8
	v_perm_b32 v218, v36, v34, s53                             // 0000000044A4: D1ED00DA 00D64524
	v_perm_b32 v219, v36, v34, s52                             // 0000000044AC: D1ED00DB 00D24524
	v_perm_b32 v220, v37, v35, s53                             // 0000000044B4: D1ED00DC 00D64725
	v_perm_b32 v221, v37, v35, s52                             // 0000000044BC: D1ED00DD 00D24725
	v_accvgpr_write_b32 a109, v218                             // 0000000044C4: D3D9406D 180001DA
	v_accvgpr_write_b32 a113, v219                             // 0000000044CC: D3D94071 180001DB
	v_accvgpr_write_b32 a117, v220                             // 0000000044D4: D3D94075 180001DC
	v_accvgpr_write_b32 a121, v221                             // 0000000044DC: D3D94079 180001DD
	ds_read_b32 v58, v4 offset:21120                           // 0000000044E4: D86C5280 3A000004
	buffer_load_dword v186, v42, s[20:23], 0 offen             // 0000000044EC: E0501000 8005BA2A
	buffer_load_dword v187, v42, s[20:23], 0 offen offset:64   // 0000000044F4: E0501040 8005BB2A
	ds_read_b32 v59, v4 offset:21184                           // 0000000044FC: D86C52C0 3B000004
	ds_read_b32 v60, v4 offset:21248                           // 000000004504: D86C5300 3C000004
	ds_read_b32 v61, v4 offset:21312                           // 00000000450C: D86C5340 3D000004
	ds_read_b32 v62, v4 offset:21376                           // 000000004514: D86C5380 3E000004
	ds_read_b32 v63, v4 offset:21440                           // 00000000451C: D86C53C0 3F000004
	ds_read_b32 v64, v4 offset:21504                           // 000000004524: D86C5400 40000004
	ds_read_b32 v65, v4 offset:21568                           // 00000000452C: D86C5440 41000004
	ds_read_b32 v66, v4 offset:21632                           // 000000004534: D86C5480 42000004
	buffer_load_dword v188, v43, s[20:23], 0 offen             // 00000000453C: E0501000 8005BC2B
	buffer_load_dword v189, v43, s[20:23], 0 offen offset:64   // 000000004544: E0501040 8005BD2B
	ds_read_b32 v67, v4 offset:21696                           // 00000000454C: D86C54C0 43000004
	ds_read_b32 v68, v4 offset:21760                           // 000000004554: D86C5500 44000004
	ds_read_b32 v69, v4 offset:21824                           // 00000000455C: D86C5540 45000004
	ds_read_b32 v70, v4 offset:21888                           // 000000004564: D86C5580 46000004
	ds_read_b32 v71, v4 offset:21952                           // 00000000456C: D86C55C0 47000004
	ds_read_b32 v72, v4 offset:22016                           // 000000004574: D86C5600 48000004
	ds_read_b32 v73, v4 offset:22080                           // 00000000457C: D86C5640 49000004
	buffer_load_dword v190, v44, s[20:23], 0 offen             // 000000004584: E0501000 8005BE2C
	buffer_load_dword v191, v44, s[20:23], 0 offen offset:64   // 00000000458C: E0501040 8005BF2C
	v_perm_b32 v34, v197, v195, s54                            // 000000004594: D1ED0022 00DB87C5
	v_perm_b32 v35, v197, v195, s55                            // 00000000459C: D1ED0023 00DF87C5
	v_perm_b32 v36, v201, v199, s54                            // 0000000045A4: D1ED0024 00DB8FC9
	v_perm_b32 v37, v201, v199, s55                            // 0000000045AC: D1ED0025 00DF8FC9
	v_perm_b32 v218, v36, v34, s53                             // 0000000045B4: D1ED00DA 00D64524
	v_perm_b32 v219, v36, v34, s52                             // 0000000045BC: D1ED00DB 00D24524
	v_perm_b32 v220, v37, v35, s53                             // 0000000045C4: D1ED00DC 00D64725
	v_perm_b32 v221, v37, v35, s52                             // 0000000045CC: D1ED00DD 00D24725
	v_accvgpr_write_b32 a125, v218                             // 0000000045D4: D3D9407D 180001DA
	v_accvgpr_write_b32 a129, v219                             // 0000000045DC: D3D94081 180001DB
	v_accvgpr_write_b32 a133, v220                             // 0000000045E4: D3D94085 180001DC
	v_accvgpr_write_b32 a137, v221                             // 0000000045EC: D3D94089 180001DD
	s_waitcnt lgkmcnt(0)                                       // 0000000045F4: BF8CC07F
	v_max3_f32 v8, v58, v59, v8                                // 0000000045F8: D1D30008 0422773A
	v_max3_f32 v8, v60, v61, v8                                // 000000004600: D1D30008 04227B3C
	v_max3_f32 v8, v62, v63, v8                                // 000000004608: D1D30008 04227F3E
	v_max3_f32 v8, v64, v65, v8                                // 000000004610: D1D30008 04228340
	v_max3_f32 v8, v66, v67, v8                                // 000000004618: D1D30008 04228742
	v_max3_f32 v8, v68, v69, v8                                // 000000004620: D1D30008 04228B44
	v_max3_f32 v8, v70, v71, v8                                // 000000004628: D1D30008 04228F46
	v_max3_f32 v8, v72, v73, v8                                // 000000004630: D1D30008 04229348
	buffer_load_dword v192, v45, s[20:23], 0 offen             // 000000004638: E0501000 8005C02D
	buffer_load_dword v193, v45, s[20:23], 0 offen offset:64   // 000000004640: E0501040 8005C12D
	v_cmp_eq_u32_e64 s[34:35], v11, v12                        // 000000004648: D0CA0022 0002190B
	v_max_f32_e32 v14, v8, v12                                 // 000000004650: 161C1908
	v_sub_f32_e32 v20, v12, v14                                // 000000004654: 04281D0C
	v_cndmask_b32_e64 v20, v20, 0, s[34:35]                    // 000000004658: D1000014 00890114
	v_mov_b32_e32 v12, v14                                     // 000000004660: 7E18030E
	v_mul_f32_e32 v9, s5, v14                                  // 000000004664: 0A121C05
	v_mul_f32_e32 v20, s5, v20                                 // 000000004668: 0A282805
	v_exp_f32_e32 v20, v20                                     // 00000000466C: 7E284114
	buffer_load_dword v194, v46, s[20:23], 0 offen             // 000000004670: E0501000 8005C22E
	buffer_load_dword v195, v46, s[20:23], 0 offen offset:64   // 000000004678: E0501040 8005C32E
	v_fma_f32 v82, v82, s5, -v9                                // 000000004680: D1CB0052 84240B52
	v_fma_f32 v83, v83, s5, -v9                                // 000000004688: D1CB0053 84240B53
	v_fma_f32 v84, v84, s5, -v9                                // 000000004690: D1CB0054 84240B54
	v_fma_f32 v85, v85, s5, -v9                                // 000000004698: D1CB0055 84240B55
	v_exp_f32_e32 v82, v82                                     // 0000000046A0: 7EA44152
	v_exp_f32_e32 v83, v83                                     // 0000000046A4: 7EA64153
	v_exp_f32_e32 v84, v84                                     // 0000000046A8: 7EA84154
	v_exp_f32_e32 v85, v85                                     // 0000000046AC: 7EAA4155
	buffer_load_dword v196, v47, s[20:23], 0 offen             // 0000000046B0: E0501000 8005C42F
	buffer_load_dword v197, v47, s[20:23], 0 offen offset:64   // 0000000046B8: E0501040 8005C52F
	v_mul_f32_e32 v15, v20, v15                                // 0000000046C0: 0A1E1F14
	v_mov_b32_e32 v17, v82                                     // 0000000046C4: 7E220352
	v_add_f32_e32 v17, v83, v17                                // 0000000046C8: 02222353
	v_add_f32_e32 v17, v84, v17                                // 0000000046CC: 02222354
	v_add_f32_e32 v17, v85, v17                                // 0000000046D0: 02222355
	v_add_f32_e32 v15, v17, v15                                // 0000000046D4: 021E1F11
	buffer_load_dword v198, v48, s[20:23], 0 offen             // 0000000046D8: E0501000 8005C630
	buffer_load_dword v199, v48, s[20:23], 0 offen offset:64   // 0000000046E0: E0501040 8005C730
	v_cvt_pk_fp8_f32 v82, v82, v83                             // 0000000046E8: D2A20052 0002A752
	v_cvt_pk_fp8_f32 v82, v84, v85 op_sel:[0,0,1]              // 0000000046F0: D2A24052 0002AB54
	ds_write_b32 v7, v82                                       // 0000000046F8: D81A0000 00005207
	buffer_load_dword v200, v49, s[20:23], 0 offen             // 000000004700: E0501000 8005C831
	buffer_load_dword v201, v49, s[20:23], 0 offen offset:64   // 000000004708: E0501040 8005C931
	s_waitcnt lgkmcnt(0)                                       // 000000004710: BF8CC07F
	s_barrier                                                  // 000000004714: BF8A0000
	ds_read_b64 v[82:83], v6                                   // 000000004718: D8EC0000 52000006
	ds_read_b64 v[84:85], v6 offset:32                         // 000000004720: D8EC0020 54000006
	v_mov_b32_e32 v34, v20                                     // 000000004728: 7E440314
	v_mov_b32_e32 v35, v20                                     // 00000000472C: 7E460314
	v_pk_mul_f32 v[90:91], v[34:35], v[90:91]                  // 000000004730: D3B1405A 1802B522
	v_pk_mul_f32 v[92:93], v[34:35], v[92:93]                  // 000000004738: D3B1405C 1802B922
	v_pk_mul_f32 v[94:95], v[34:35], v[94:95]                  // 000000004740: D3B1405E 1802BD22
	v_pk_mul_f32 v[96:97], v[34:35], v[96:97]                  // 000000004748: D3B14060 1802C122
	v_pk_mul_f32 v[98:99], v[34:35], v[98:99]                  // 000000004750: D3B14062 1802C522
	v_pk_mul_f32 v[100:101], v[34:35], v[100:101]              // 000000004758: D3B14064 1802C922
	v_pk_mul_f32 v[102:103], v[34:35], v[102:103]              // 000000004760: D3B14066 1802CD22
	v_pk_mul_f32 v[104:105], v[34:35], v[104:105]              // 000000004768: D3B14068 1802D122
	v_pk_mul_f32 v[106:107], v[34:35], v[106:107]              // 000000004770: D3B1406A 1802D522
	v_pk_mul_f32 v[108:109], v[34:35], v[108:109]              // 000000004778: D3B1406C 1802D922
	v_pk_mul_f32 v[110:111], v[34:35], v[110:111]              // 000000004780: D3B1406E 1802DD22
	v_pk_mul_f32 v[112:113], v[34:35], v[112:113]              // 000000004788: D3B14070 1802E122
	v_pk_mul_f32 v[114:115], v[34:35], v[114:115]              // 000000004790: D3B14072 1802E522
	v_pk_mul_f32 v[116:117], v[34:35], v[116:117]              // 000000004798: D3B14074 1802E922
	v_pk_mul_f32 v[118:119], v[34:35], v[118:119]              // 0000000047A0: D3B14076 1802ED22
	v_pk_mul_f32 v[120:121], v[34:35], v[120:121]              // 0000000047A8: D3B14078 1802F122
	s_waitcnt lgkmcnt(0)                                       // 0000000047B0: BF8CC07F
	s_cmp_le_i32 s83, s82                                      // 0000000047B4: BF055253
	s_cbranch_scc1 label_0952                                  // 0000000047B8: BF850023
	s_add_u32 s57, s82, 1                                      // 0000000047BC: 80398152
	v_mov_b32_e32 v38, s57                                     // 0000000047C0: 7E4C0239
	s_sub_u32 s56, s83, 63                                     // 0000000047C4: 80B8BF53
	s_mul_i32 s57, s7, 16                                      // 0000000047C8: 92399007
	v_lshrrev_b32_e32 v47, 4, v0                               // 0000000047CC: 205E0084
	v_mul_i32_i24_e32 v47, 4, v47                              // 0000000047D0: 0C5E5E84
	v_add_u32_e32 v47, s56, v47                                // 0000000047D4: 685E5E38
	v_add_u32_e32 v47, s57, v47                                // 0000000047D8: 685E5E39
	v_add_u32_e32 v48, 1, v47                                  // 0000000047DC: 68605E81
	v_add_u32_e32 v49, 2, v47                                  // 0000000047E0: 68625E82
	v_add_u32_e32 v50, 3, v47                                  // 0000000047E4: 68645E83
	v_cmp_le_u32_e64 s[34:35], v47, v38                        // 0000000047E8: D0CB0022 00024D2F
	v_add_u32_e32 v47, 64, v47                                 // 0000000047F0: 685E5EC0
	s_nop 0                                                    // 0000000047F4: BF800000
	v_cndmask_b32_e64 v86, v11, v86, s[34:35]                  // 0000000047F8: D1000056 008AAD0B
	v_cmp_le_u32_e64 s[34:35], v48, v38                        // 000000004800: D0CB0022 00024D30
	v_add_u32_e32 v48, 64, v48                                 // 000000004808: 686060C0
	s_nop 0                                                    // 00000000480C: BF800000
	v_cndmask_b32_e64 v87, v11, v87, s[34:35]                  // 000000004810: D1000057 008AAF0B
	v_cmp_le_u32_e64 s[34:35], v49, v38                        // 000000004818: D0CB0022 00024D31
	v_add_u32_e32 v49, 64, v49                                 // 000000004820: 686262C0
	s_nop 0                                                    // 000000004824: BF800000
	v_cndmask_b32_e64 v88, v11, v88, s[34:35]                  // 000000004828: D1000058 008AB10B
	v_cmp_le_u32_e64 s[34:35], v50, v38                        // 000000004830: D0CB0022 00024D32
	v_add_u32_e32 v50, 64, v50                                 // 000000004838: 686464C0
	s_nop 0                                                    // 00000000483C: BF800000
	v_cndmask_b32_e64 v89, v11, v89, s[34:35]                  // 000000004840: D1000059 008AB30B

0000000000004848 <label_0952>:
	s_add_u32 s83, s84, s83                                    // 000000004848: 80535354
	v_mov_b32_e32 v8, v86                                      // 00000000484C: 7E100356
	v_max3_f32 v8, v86, v87, v8                                // 000000004850: D1D30008 0422AF56
	v_max3_f32 v8, v88, v89, v8                                // 000000004858: D1D30008 0422B358
	ds_write_b32 v5, v8 offset:21120                           // 000000004860: D81A5280 00000805
	v_perm_b32 v34, v204, v202, s54                            // 000000004868: D1ED0022 00DB95CC
	v_perm_b32 v35, v204, v202, s55                            // 000000004870: D1ED0023 00DF95CC
	v_perm_b32 v36, v208, v206, s54                            // 000000004878: D1ED0024 00DB9DD0
	v_perm_b32 v37, v208, v206, s55                            // 000000004880: D1ED0025 00DF9DD0
	v_perm_b32 v218, v36, v34, s53                             // 000000004888: D1ED00DA 00D64524
	v_perm_b32 v219, v36, v34, s52                             // 000000004890: D1ED00DB 00D24524
	v_perm_b32 v220, v37, v35, s53                             // 000000004898: D1ED00DC 00D64725
	v_perm_b32 v221, v37, v35, s52                             // 0000000048A0: D1ED00DD 00D24725
	v_accvgpr_write_b32 a110, v218                             // 0000000048A8: D3D9406E 180001DA
	v_accvgpr_write_b32 a114, v219                             // 0000000048B0: D3D94072 180001DB
	v_accvgpr_write_b32 a118, v220                             // 0000000048B8: D3D94076 180001DC
	v_accvgpr_write_b32 a122, v221                             // 0000000048C0: D3D9407A 180001DD
	v_perm_b32 v34, v205, v203, s54                            // 0000000048C8: D1ED0022 00DB97CD
	v_perm_b32 v35, v205, v203, s55                            // 0000000048D0: D1ED0023 00DF97CD
	v_perm_b32 v36, v209, v207, s54                            // 0000000048D8: D1ED0024 00DB9FD1
	v_perm_b32 v37, v209, v207, s55                            // 0000000048E0: D1ED0025 00DF9FD1
	v_perm_b32 v218, v36, v34, s53                             // 0000000048E8: D1ED00DA 00D64524
	v_perm_b32 v219, v36, v34, s52                             // 0000000048F0: D1ED00DB 00D24524
	v_perm_b32 v220, v37, v35, s53                             // 0000000048F8: D1ED00DC 00D64725
	v_perm_b32 v221, v37, v35, s52                             // 000000004900: D1ED00DD 00D24725
	v_accvgpr_write_b32 a126, v218                             // 000000004908: D3D9407E 180001DA
	v_accvgpr_write_b32 a130, v219                             // 000000004910: D3D94082 180001DB
	v_accvgpr_write_b32 a134, v220                             // 000000004918: D3D94086 180001DC
	v_accvgpr_write_b32 a138, v221                             // 000000004920: D3D9408A 180001DD
	s_waitcnt lgkmcnt(0)                                       // 000000004928: BF8CC07F
	s_barrier                                                  // 00000000492C: BF8A0000
	v_perm_b32 v34, v212, v210, s54                            // 000000004930: D1ED0022 00DBA5D4
	v_perm_b32 v35, v212, v210, s55                            // 000000004938: D1ED0023 00DFA5D4
	v_perm_b32 v36, v216, v214, s54                            // 000000004940: D1ED0024 00DBADD8
	v_perm_b32 v37, v216, v214, s55                            // 000000004948: D1ED0025 00DFADD8
	v_perm_b32 v218, v36, v34, s53                             // 000000004950: D1ED00DA 00D64524
	v_perm_b32 v219, v36, v34, s52                             // 000000004958: D1ED00DB 00D24524
	v_perm_b32 v220, v37, v35, s53                             // 000000004960: D1ED00DC 00D64725
	v_perm_b32 v221, v37, v35, s52                             // 000000004968: D1ED00DD 00D24725
	v_accvgpr_write_b32 a111, v218                             // 000000004970: D3D9406F 180001DA
	v_accvgpr_write_b32 a115, v219                             // 000000004978: D3D94073 180001DB
	v_accvgpr_write_b32 a119, v220                             // 000000004980: D3D94077 180001DC
	v_accvgpr_write_b32 a123, v221                             // 000000004988: D3D9407B 180001DD
	ds_read_b32 v58, v4 offset:21120                           // 000000004990: D86C5280 3A000004
	buffer_load_dword v202, v50, s[20:23], 0 offen             // 000000004998: E0501000 8005CA32
	buffer_load_dword v203, v50, s[20:23], 0 offen offset:64   // 0000000049A0: E0501040 8005CB32
	ds_read_b32 v59, v4 offset:21184                           // 0000000049A8: D86C52C0 3B000004
	ds_read_b32 v60, v4 offset:21248                           // 0000000049B0: D86C5300 3C000004
	ds_read_b32 v61, v4 offset:21312                           // 0000000049B8: D86C5340 3D000004
	ds_read_b32 v62, v4 offset:21376                           // 0000000049C0: D86C5380 3E000004
	ds_read_b32 v63, v4 offset:21440                           // 0000000049C8: D86C53C0 3F000004
	ds_read_b32 v64, v4 offset:21504                           // 0000000049D0: D86C5400 40000004
	ds_read_b32 v65, v4 offset:21568                           // 0000000049D8: D86C5440 41000004
	ds_read_b32 v66, v4 offset:21632                           // 0000000049E0: D86C5480 42000004
	buffer_load_dword v204, v51, s[20:23], 0 offen             // 0000000049E8: E0501000 8005CC33
	buffer_load_dword v205, v51, s[20:23], 0 offen offset:64   // 0000000049F0: E0501040 8005CD33
	ds_read_b32 v67, v4 offset:21696                           // 0000000049F8: D86C54C0 43000004
	ds_read_b32 v68, v4 offset:21760                           // 000000004A00: D86C5500 44000004
	ds_read_b32 v69, v4 offset:21824                           // 000000004A08: D86C5540 45000004
	ds_read_b32 v70, v4 offset:21888                           // 000000004A10: D86C5580 46000004
	ds_read_b32 v71, v4 offset:21952                           // 000000004A18: D86C55C0 47000004
	ds_read_b32 v72, v4 offset:22016                           // 000000004A20: D86C5600 48000004
	ds_read_b32 v73, v4 offset:22080                           // 000000004A28: D86C5640 49000004
	buffer_load_dword v206, v52, s[20:23], 0 offen             // 000000004A30: E0501000 8005CE34
	buffer_load_dword v207, v52, s[20:23], 0 offen offset:64   // 000000004A38: E0501040 8005CF34
	v_perm_b32 v34, v213, v211, s54                            // 000000004A40: D1ED0022 00DBA7D5
	v_perm_b32 v35, v213, v211, s55                            // 000000004A48: D1ED0023 00DFA7D5
	v_perm_b32 v36, v217, v215, s54                            // 000000004A50: D1ED0024 00DBAFD9
	v_perm_b32 v37, v217, v215, s55                            // 000000004A58: D1ED0025 00DFAFD9
	v_perm_b32 v218, v36, v34, s53                             // 000000004A60: D1ED00DA 00D64524
	v_perm_b32 v219, v36, v34, s52                             // 000000004A68: D1ED00DB 00D24524
	v_perm_b32 v220, v37, v35, s53                             // 000000004A70: D1ED00DC 00D64725
	v_perm_b32 v221, v37, v35, s52                             // 000000004A78: D1ED00DD 00D24725
	v_accvgpr_write_b32 a127, v218                             // 000000004A80: D3D9407F 180001DA
	v_accvgpr_write_b32 a131, v219                             // 000000004A88: D3D94083 180001DB
	v_accvgpr_write_b32 a135, v220                             // 000000004A90: D3D94087 180001DC
	v_accvgpr_write_b32 a139, v221                             // 000000004A98: D3D9408B 180001DD
	s_waitcnt lgkmcnt(0)                                       // 000000004AA0: BF8CC07F
	v_max3_f32 v8, v58, v59, v8                                // 000000004AA4: D1D30008 0422773A
	v_max3_f32 v8, v60, v61, v8                                // 000000004AAC: D1D30008 04227B3C
	v_max3_f32 v8, v62, v63, v8                                // 000000004AB4: D1D30008 04227F3E
	v_max3_f32 v8, v64, v65, v8                                // 000000004ABC: D1D30008 04228340
	v_max3_f32 v8, v66, v67, v8                                // 000000004AC4: D1D30008 04228742
	v_max3_f32 v8, v68, v69, v8                                // 000000004ACC: D1D30008 04228B44
	v_max3_f32 v8, v70, v71, v8                                // 000000004AD4: D1D30008 04228F46
	v_max3_f32 v8, v72, v73, v8                                // 000000004ADC: D1D30008 04229348
	buffer_load_dword v208, v53, s[20:23], 0 offen             // 000000004AE4: E0501000 8005D035
	buffer_load_dword v209, v53, s[20:23], 0 offen offset:64   // 000000004AEC: E0501040 8005D135
	v_cmp_eq_u32_e64 s[34:35], v11, v13                        // 000000004AF4: D0CA0022 00021B0B
	v_max_f32_e32 v14, v8, v13                                 // 000000004AFC: 161C1B08
	v_sub_f32_e32 v21, v13, v14                                // 000000004B00: 042A1D0D
	v_cndmask_b32_e64 v21, v21, 0, s[34:35]                    // 000000004B04: D1000015 00890115
	v_mov_b32_e32 v13, v14                                     // 000000004B0C: 7E1A030E
	v_mul_f32_e32 v9, s5, v14                                  // 000000004B10: 0A121C05
	v_mul_f32_e32 v21, s5, v21                                 // 000000004B14: 0A2A2A05
	v_exp_f32_e32 v21, v21                                     // 000000004B18: 7E2A4115
	buffer_load_dword v210, v54, s[20:23], 0 offen             // 000000004B1C: E0501000 8005D236
	buffer_load_dword v211, v54, s[20:23], 0 offen offset:64   // 000000004B24: E0501040 8005D336
	v_fma_f32 v86, v86, s5, -v9                                // 000000004B2C: D1CB0056 84240B56
	v_fma_f32 v87, v87, s5, -v9                                // 000000004B34: D1CB0057 84240B57
	v_fma_f32 v88, v88, s5, -v9                                // 000000004B3C: D1CB0058 84240B58
	v_fma_f32 v89, v89, s5, -v9                                // 000000004B44: D1CB0059 84240B59
	v_exp_f32_e32 v86, v86                                     // 000000004B4C: 7EAC4156
	v_exp_f32_e32 v87, v87                                     // 000000004B50: 7EAE4157
	v_exp_f32_e32 v88, v88                                     // 000000004B54: 7EB04158
	v_exp_f32_e32 v89, v89                                     // 000000004B58: 7EB24159
	buffer_load_dword v212, v55, s[20:23], 0 offen             // 000000004B5C: E0501000 8005D437
	buffer_load_dword v213, v55, s[20:23], 0 offen offset:64   // 000000004B64: E0501040 8005D537
	v_mul_f32_e32 v16, v21, v16                                // 000000004B6C: 0A202115
	v_mov_b32_e32 v17, v86                                     // 000000004B70: 7E220356
	v_add_f32_e32 v17, v87, v17                                // 000000004B74: 02222357
	v_add_f32_e32 v17, v88, v17                                // 000000004B78: 02222358
	v_add_f32_e32 v17, v89, v17                                // 000000004B7C: 02222359
	v_add_f32_e32 v16, v17, v16                                // 000000004B80: 02202111
	buffer_load_dword v214, v56, s[20:23], 0 offen             // 000000004B84: E0501000 8005D638
	buffer_load_dword v215, v56, s[20:23], 0 offen offset:64   // 000000004B8C: E0501040 8005D738
	v_cvt_pk_fp8_f32 v86, v86, v87                             // 000000004B94: D2A20056 0002AF56
	v_cvt_pk_fp8_f32 v86, v88, v89 op_sel:[0,0,1]              // 000000004B9C: D2A24056 0002B358
	ds_write_b32 v7, v86                                       // 000000004BA4: D81A0000 00005607
	buffer_load_dword v216, v57, s[20:23], 0 offen             // 000000004BAC: E0501000 8005D839
	buffer_load_dword v217, v57, s[20:23], 0 offen offset:64   // 000000004BB4: E0501040 8005D939
	v_mov_b32_e32 v34, v21                                     // 000000004BBC: 7E440315
	v_mov_b32_e32 v35, v21                                     // 000000004BC0: 7E460315
	v_pk_mul_f32 v[122:123], v[34:35], v[122:123]              // 000000004BC4: D3B1407A 1802F522
	v_pk_mul_f32 v[124:125], v[34:35], v[124:125]              // 000000004BCC: D3B1407C 1802F922
	v_pk_mul_f32 v[126:127], v[34:35], v[126:127]              // 000000004BD4: D3B1407E 1802FD22
	v_pk_mul_f32 v[128:129], v[34:35], v[128:129]              // 000000004BDC: D3B14080 18030122
	v_pk_mul_f32 v[130:131], v[34:35], v[130:131]              // 000000004BE4: D3B14082 18030522
	v_pk_mul_f32 v[132:133], v[34:35], v[132:133]              // 000000004BEC: D3B14084 18030922
	v_pk_mul_f32 v[134:135], v[34:35], v[134:135]              // 000000004BF4: D3B14086 18030D22
	v_pk_mul_f32 v[136:137], v[34:35], v[136:137]              // 000000004BFC: D3B14088 18031122
	v_pk_mul_f32 v[138:139], v[34:35], v[138:139]              // 000000004C04: D3B1408A 18031522
	v_pk_mul_f32 v[140:141], v[34:35], v[140:141]              // 000000004C0C: D3B1408C 18031922
	v_pk_mul_f32 v[142:143], v[34:35], v[142:143]              // 000000004C14: D3B1408E 18031D22
	v_pk_mul_f32 v[144:145], v[34:35], v[144:145]              // 000000004C1C: D3B14090 18032122
	v_pk_mul_f32 v[146:147], v[34:35], v[146:147]              // 000000004C24: D3B14092 18032522
	v_pk_mul_f32 v[148:149], v[34:35], v[148:149]              // 000000004C2C: D3B14094 18032922
	v_pk_mul_f32 v[150:151], v[34:35], v[150:151]              // 000000004C34: D3B14096 18032D22
	v_pk_mul_f32 v[152:153], v[34:35], v[152:153]              // 000000004C3C: D3B14098 18033122
	s_waitcnt lgkmcnt(0)                                       // 000000004C44: BF8CC07F
	s_barrier                                                  // 000000004C48: BF8A0000
	ds_read_b64 v[86:87], v6                                   // 000000004C4C: D8EC0000 56000006
	ds_read_b64 v[88:89], v6 offset:32                         // 000000004C54: D8EC0020 58000006
	v_mul_u32_u24_dpp v42, v26, v10 row_newbcast:0 row_mask:0xf bank_mask:0xf// 000000004C5C: 105414FA FF01501A
	v_mul_u32_u24_dpp v43, v26, v10 row_newbcast:1 row_mask:0xf bank_mask:0xf// 000000004C64: 105614FA FF01511A
	v_mul_u32_u24_dpp v44, v26, v10 row_newbcast:2 row_mask:0xf bank_mask:0xf// 000000004C6C: 105814FA FF01521A
	v_mul_u32_u24_dpp v45, v26, v10 row_newbcast:3 row_mask:0xf bank_mask:0xf// 000000004C74: 105A14FA FF01531A
	v_mul_u32_u24_dpp v46, v26, v10 row_newbcast:4 row_mask:0xf bank_mask:0xf// 000000004C7C: 105C14FA FF01541A
	v_mul_u32_u24_dpp v47, v26, v10 row_newbcast:5 row_mask:0xf bank_mask:0xf// 000000004C84: 105E14FA FF01551A
	v_mul_u32_u24_dpp v48, v26, v10 row_newbcast:6 row_mask:0xf bank_mask:0xf// 000000004C8C: 106014FA FF01561A
	v_mul_u32_u24_dpp v49, v26, v10 row_newbcast:7 row_mask:0xf bank_mask:0xf// 000000004C94: 106214FA FF01571A
	v_mul_u32_u24_dpp v50, v26, v10 row_newbcast:8 row_mask:0xf bank_mask:0xf// 000000004C9C: 106414FA FF01581A
	v_mul_u32_u24_dpp v51, v26, v10 row_newbcast:9 row_mask:0xf bank_mask:0xf// 000000004CA4: 106614FA FF01591A
	v_mul_u32_u24_dpp v52, v26, v10 row_newbcast:10 row_mask:0xf bank_mask:0xf// 000000004CAC: 106814FA FF015A1A
	v_mul_u32_u24_dpp v53, v26, v10 row_newbcast:11 row_mask:0xf bank_mask:0xf// 000000004CB4: 106A14FA FF015B1A
	v_mul_u32_u24_dpp v54, v26, v10 row_newbcast:12 row_mask:0xf bank_mask:0xf// 000000004CBC: 106C14FA FF015C1A
	v_mul_u32_u24_dpp v55, v26, v10 row_newbcast:13 row_mask:0xf bank_mask:0xf// 000000004CC4: 106E14FA FF015D1A
	v_mul_u32_u24_dpp v56, v26, v10 row_newbcast:14 row_mask:0xf bank_mask:0xf// 000000004CCC: 107014FA FF015E1A
	v_mul_u32_u24_dpp v57, v26, v10 row_newbcast:15 row_mask:0xf bank_mask:0xf// 000000004CD4: 107214FA FF015F1A
	s_mov_b32 s56, m0                                          // 000000004CDC: BEB8007C
	s_set_gpr_idx_on s51, gpr_idx(SRC0)                        // 000000004CE0: BF110133
	v_add_u32_e32 v38, v42, v3                                 // 000000004CE4: 684C072A
	v_add_u32_e32 v39, v43, v3                                 // 000000004CE8: 684E072B
	v_add_u32_e32 v40, v44, v3                                 // 000000004CEC: 6850072C
	v_add_u32_e32 v41, v45, v3                                 // 000000004CF0: 6852072D
	s_set_gpr_idx_off                                          // 000000004CF4: BF9C0000
	s_mov_b32 m0, s56                                          // 000000004CF8: BEFC0038
	v_add_u32_e32 v42, v42, v2                                 // 000000004CFC: 6854052A
	v_add_u32_e32 v43, v43, v2                                 // 000000004D00: 6856052B
	v_add_u32_e32 v44, v44, v2                                 // 000000004D04: 6858052C
	v_add_u32_e32 v45, v45, v2                                 // 000000004D08: 685A052D
	v_add_u32_e32 v46, v46, v2                                 // 000000004D0C: 685C052E
	v_add_u32_e32 v47, v47, v2                                 // 000000004D10: 685E052F
	v_add_u32_e32 v48, v48, v2                                 // 000000004D14: 68600530
	v_add_u32_e32 v49, v49, v2                                 // 000000004D18: 68620531
	v_add_u32_e32 v50, v50, v2                                 // 000000004D1C: 68640532
	v_add_u32_e32 v51, v51, v2                                 // 000000004D20: 68660533
	v_add_u32_e32 v52, v52, v2                                 // 000000004D24: 68680534
	v_add_u32_e32 v53, v53, v2                                 // 000000004D28: 686A0535
	v_add_u32_e32 v54, v54, v2                                 // 000000004D2C: 686C0536
	v_add_u32_e32 v55, v55, v2                                 // 000000004D30: 686E0537
	v_add_u32_e32 v56, v56, v2                                 // 000000004D34: 68700538
	v_add_u32_e32 v57, v57, v2                                 // 000000004D38: 68720539
	s_waitcnt lgkmcnt(0)                                       // 000000004D3C: BF8CC07F
	s_waitcnt vmcnt(37)                                        // 000000004D40: BF8C8F75
	v_mfma_f32_16x16x32_fp8_fp8 v[90:93], a[108:109], v[82:83], v[90:93]// 000000004D44: D3F3005A 0D6AA56C
	v_mfma_f32_16x16x32_fp8_fp8 v[90:93], a[110:111], v[84:85], v[90:93]// 000000004D4C: D3F3005A 0D6AA96E
	ds_write_b32 v22, v170                                     // 000000004D54: D81A0000 0000AA16
	ds_write_b32 v22, v171 offset:64                           // 000000004D5C: D81A0040 0000AB16
	v_mfma_f32_16x16x32_fp8_fp8 v[94:97], a[112:113], v[82:83], v[94:97]// 000000004D64: D3F3005E 0D7AA570
	v_mfma_f32_16x16x32_fp8_fp8 v[94:97], a[114:115], v[84:85], v[94:97]// 000000004D6C: D3F3005E 0D7AA972
	ds_write_b32 v22, v172 offset:4128                         // 000000004D74: D81A1020 0000AC16
	ds_write_b32 v22, v173 offset:4192                         // 000000004D7C: D81A1060 0000AD16
	v_mfma_f32_16x16x32_fp8_fp8 v[98:101], a[116:117], v[82:83], v[98:101]// 000000004D84: D3F30062 0D8AA574
	v_mfma_f32_16x16x32_fp8_fp8 v[98:101], a[118:119], v[84:85], v[98:101]// 000000004D8C: D3F30062 0D8AA976
	ds_write_b32 v22, v174 offset:8256                         // 000000004D94: D81A2040 0000AE16
	ds_write_b32 v22, v175 offset:8320                         // 000000004D9C: D81A2080 0000AF16
	v_mfma_f32_16x16x32_fp8_fp8 v[102:105], a[120:121], v[82:83], v[102:105]// 000000004DA4: D3F30066 0D9AA578
	v_mfma_f32_16x16x32_fp8_fp8 v[102:105], a[122:123], v[84:85], v[102:105]// 000000004DAC: D3F30066 0D9AA97A
	ds_write_b32 v22, v176 offset:12384                        // 000000004DB4: D81A3060 0000B016
	ds_write_b32 v22, v177 offset:12448                        // 000000004DBC: D81A30A0 0000B116
	v_mfma_f32_16x16x32_fp8_fp8 v[106:109], a[124:125], v[82:83], v[106:109]// 000000004DC4: D3F3006A 0DAAA57C
	v_mfma_f32_16x16x32_fp8_fp8 v[106:109], a[126:127], v[84:85], v[106:109]// 000000004DCC: D3F3006A 0DAAA97E
	ds_write_b32 v22, v178 offset:512                          // 000000004DD4: D81A0200 0000B216
	ds_write_b32 v22, v179 offset:576                          // 000000004DDC: D81A0240 0000B316
	v_mfma_f32_16x16x32_fp8_fp8 v[110:113], a[128:129], v[82:83], v[110:113]// 000000004DE4: D3F3006E 0DBAA580
	v_mfma_f32_16x16x32_fp8_fp8 v[110:113], a[130:131], v[84:85], v[110:113]// 000000004DEC: D3F3006E 0DBAA982
	ds_write_b32 v22, v180 offset:4640                         // 000000004DF4: D81A1220 0000B416
	ds_write_b32 v22, v181 offset:4704                         // 000000004DFC: D81A1260 0000B516
	v_mfma_f32_16x16x32_fp8_fp8 v[114:117], a[132:133], v[82:83], v[114:117]// 000000004E04: D3F30072 0DCAA584
	v_mfma_f32_16x16x32_fp8_fp8 v[114:117], a[134:135], v[84:85], v[114:117]// 000000004E0C: D3F30072 0DCAA986
	ds_write_b32 v22, v182 offset:8768                         // 000000004E14: D81A2240 0000B616
	ds_write_b32 v22, v183 offset:8832                         // 000000004E1C: D81A2280 0000B716
	v_mfma_f32_16x16x32_fp8_fp8 v[118:121], a[136:137], v[82:83], v[118:121]// 000000004E24: D3F30076 0DDAA588
	v_mfma_f32_16x16x32_fp8_fp8 v[118:121], a[138:139], v[84:85], v[118:121]// 000000004E2C: D3F30076 0DDAA98A
	ds_write_b32 v22, v184 offset:12896                        // 000000004E34: D81A3260 0000B816
	ds_write_b32 v22, v185 offset:12960                        // 000000004E3C: D81A32A0 0000B916
	ds_read_b64 a[104:105], v25 offset:16512                   // 000000004E44: DAEC4080 68000019
	ds_read_b64 a[106:107], v25 offset:16520                   // 000000004E4C: DAEC4088 6A000019
	v_mfma_f32_16x16x32_fp8_fp8 v[122:125], a[108:109], v[86:87], v[122:125]// 000000004E54: D3F3007A 0DEAAD6C
	v_mfma_f32_16x16x32_fp8_fp8 v[122:125], a[110:111], v[88:89], v[122:125]// 000000004E5C: D3F3007A 0DEAB16E
	s_waitcnt lgkmcnt(4)                                       // 000000004E64: BF8CC47F
	s_barrier                                                  // 000000004E68: BF8A0000
	v_mfma_f32_16x16x32_fp8_fp8 v[126:129], a[112:113], v[86:87], v[126:129]// 000000004E6C: D3F3007E 0DFAAD70
	v_mfma_f32_16x16x32_fp8_fp8 v[126:129], a[114:115], v[88:89], v[126:129]// 000000004E74: D3F3007E 0DFAB172
	v_mfma_f32_16x16x32_fp8_fp8 v[130:133], a[116:117], v[86:87], v[130:133]// 000000004E7C: D3F30082 0E0AAD74
	v_mfma_f32_16x16x32_fp8_fp8 v[130:133], a[118:119], v[88:89], v[130:133]// 000000004E84: D3F30082 0E0AB176
	v_mfma_f32_16x16x32_fp8_fp8 v[134:137], a[120:121], v[86:87], v[134:137]// 000000004E8C: D3F30086 0E1AAD78
	v_mfma_f32_16x16x32_fp8_fp8 v[134:137], a[122:123], v[88:89], v[134:137]// 000000004E94: D3F30086 0E1AB17A
	v_mfma_f32_16x16x32_fp8_fp8 v[138:141], a[124:125], v[86:87], v[138:141]// 000000004E9C: D3F3008A 0E2AAD7C
	v_mfma_f32_16x16x32_fp8_fp8 v[138:141], a[126:127], v[88:89], v[138:141]// 000000004EA4: D3F3008A 0E2AB17E
	v_mfma_f32_16x16x32_fp8_fp8 v[142:145], a[128:129], v[86:87], v[142:145]// 000000004EAC: D3F3008E 0E3AAD80
	v_mfma_f32_16x16x32_fp8_fp8 v[142:145], a[130:131], v[88:89], v[142:145]// 000000004EB4: D3F3008E 0E3AB182
	v_mfma_f32_16x16x32_fp8_fp8 v[146:149], a[132:133], v[86:87], v[146:149]// 000000004EBC: D3F30092 0E4AAD84
	v_mfma_f32_16x16x32_fp8_fp8 v[146:149], a[134:135], v[88:89], v[146:149]// 000000004EC4: D3F30092 0E4AB186
	v_mfma_f32_16x16x32_fp8_fp8 v[150:153], a[136:137], v[86:87], v[150:153]// 000000004ECC: D3F30096 0E5AAD88
	v_mfma_f32_16x16x32_fp8_fp8 v[150:153], a[138:139], v[88:89], v[150:153]// 000000004ED4: D3F30096 0E5AB18A
	s_addk_i32 s70, 0x1                                        // 000000004EDC: B7460001
	s_cmp_lt_i32 s70, s71                                      // 000000004EE0: BF044746
	s_cbranch_scc0 label_0AFB                                  // 000000004EE4: BF840001
	s_branch label_03EE                                        // 000000004EE8: BF82F8F3

0000000000004eec <label_0AFB>:
	s_nop 0                                                    // 000000004EEC: BF800000
	s_nop 0                                                    // 000000004EF0: BF800000
	s_branch label_120B                                        // 000000004EF4: BF82070D

0000000000004ef8 <label_0AFE>:
	s_waitcnt vmcnt(16) lgkmcnt(0)                             // 000000004EF8: BF8C4070
	s_barrier                                                  // 000000004EFC: BF8A0000
	v_mfma_f32_16x16x32_fp8_fp8 v[82:85], a[72:73], a[0:1], 0  // 000000004F00: D3F30052 1A020148
	buffer_load_dword v26, v28, s[24:27], 0 offen              // 000000004F08: E0501000 80061A1C
	v_mfma_f32_16x16x32_fp8_fp8 v[82:85], a[74:75], a[2:3], v[82:85]// 000000004F10: D3F30052 1D4A054A
	ds_write_b32 v22, v186                                     // 000000004F18: D81A0000 0000BA16
	ds_write_b32 v22, v187 offset:64                           // 000000004F20: D81A0040 0000BB16
	v_mfma_f32_16x16x32_fp8_fp8 v[82:85], a[76:77], a[4:5], v[82:85]// 000000004F28: D3F30052 1D4A094C
	v_mfma_f32_16x16x32_fp8_fp8 v[82:85], a[78:79], a[6:7], v[82:85]// 000000004F30: D3F30052 1D4A0D4E
	ds_write_b32 v22, v188 offset:4128                         // 000000004F38: D81A1020 0000BC16
	ds_write_b32 v22, v189 offset:4192                         // 000000004F40: D81A1060 0000BD16
	v_mfma_f32_16x16x32_fp8_fp8 v[82:85], a[80:81], a[8:9], v[82:85]// 000000004F48: D3F30052 1D4A1150
	v_mfma_f32_16x16x32_fp8_fp8 v[82:85], a[82:83], a[10:11], v[82:85]// 000000004F50: D3F30052 1D4A1552
	ds_write_b32 v22, v190 offset:8256                         // 000000004F58: D81A2040 0000BE16
	ds_write_b32 v22, v191 offset:8320                         // 000000004F60: D81A2080 0000BF16
	v_mfma_f32_16x16x32_fp8_fp8 v[82:85], a[84:85], a[12:13], v[82:85]// 000000004F68: D3F30052 1D4A1954
	v_mfma_f32_16x16x32_fp8_fp8 v[82:85], a[86:87], a[14:15], v[82:85]// 000000004F70: D3F30052 1D4A1D56
	ds_write_b32 v22, v192 offset:12384                        // 000000004F78: D81A3060 0000C016
	ds_write_b32 v22, v193 offset:12448                        // 000000004F80: D81A30A0 0000C116
	v_mfma_f32_16x16x32_fp8_fp8 v[82:85], a[88:89], a[16:17], v[82:85]// 000000004F88: D3F30052 1D4A2158
	v_mfma_f32_16x16x32_fp8_fp8 v[82:85], a[90:91], a[18:19], v[82:85]// 000000004F90: D3F30052 1D4A255A
	ds_write_b32 v22, v194 offset:512                          // 000000004F98: D81A0200 0000C216
	ds_write_b32 v22, v195 offset:576                          // 000000004FA0: D81A0240 0000C316
	v_mfma_f32_16x16x32_fp8_fp8 v[82:85], a[92:93], a[20:21], v[82:85]// 000000004FA8: D3F30052 1D4A295C
	v_mfma_f32_16x16x32_fp8_fp8 v[82:85], a[94:95], a[22:23], v[82:85]// 000000004FB0: D3F30052 1D4A2D5E
	ds_write_b32 v22, v196 offset:4640                         // 000000004FB8: D81A1220 0000C416
	ds_write_b32 v22, v197 offset:4704                         // 000000004FC0: D81A1260 0000C516
	v_mfma_f32_16x16x32_fp8_fp8 v[82:85], a[96:97], a[24:25], v[82:85]// 000000004FC8: D3F30052 1D4A3160
	v_mfma_f32_16x16x32_fp8_fp8 v[82:85], a[98:99], a[26:27], v[82:85]// 000000004FD0: D3F30052 1D4A3562
	ds_write_b32 v22, v198 offset:8768                         // 000000004FD8: D81A2240 0000C616
	ds_write_b32 v22, v199 offset:8832                         // 000000004FE0: D81A2280 0000C716
	v_mfma_f32_16x16x32_fp8_fp8 v[82:85], a[100:101], a[28:29], v[82:85]// 000000004FE8: D3F30052 1D4A3964
	v_mfma_f32_16x16x32_fp8_fp8 v[82:85], a[102:103], a[30:31], v[82:85]// 000000004FF0: D3F30052 1D4A3D66
	ds_write_b32 v22, v200 offset:12896                        // 000000004FF8: D81A3260 0000C816
	ds_write_b32 v22, v201 offset:12960                        // 000000005000: D81A32A0 0000C916
	v_mfma_f32_16x16x32_fp8_fp8 v[82:85], a[104:105], a[32:33], v[82:85]// 000000005008: D3F30052 1D4A4168
	buffer_load_dword v74, v38, s[20:23], 0 offen              // 000000005010: E0501000 80054A26
	buffer_load_dword v75, v39, s[20:23], 0 offen              // 000000005018: E0501000 80054B27
	v_mfma_f32_16x16x32_fp8_fp8 v[82:85], a[106:107], a[34:35], v[82:85]// 000000005020: D3F30052 1D4A456A
	ds_write_b32 v23, v78 offset:16512                         // 000000005028: D81A4080 00004E17
	ds_write_b32 v23, v79 offset:16584                         // 000000005030: D81A40C8 00004F17
	v_add_u32_e32 v28, s73, v28                                // 000000005038: 68383849
	v_mfma_f32_16x16x32_fp8_fp8 v[86:89], a[72:73], a[36:37], 0// 00000000503C: D3F30056 1A024948
	v_mfma_f32_16x16x32_fp8_fp8 v[86:89], a[74:75], a[38:39], v[86:89]// 000000005044: D3F30056 1D5A4D4A
	v_mfma_f32_16x16x32_fp8_fp8 v[86:89], a[76:77], a[40:41], v[86:89]// 00000000504C: D3F30056 1D5A514C
	v_mfma_f32_16x16x32_fp8_fp8 v[86:89], a[78:79], a[42:43], v[86:89]// 000000005054: D3F30056 1D5A554E
	v_mfma_f32_16x16x32_fp8_fp8 v[86:89], a[80:81], a[44:45], v[86:89]// 00000000505C: D3F30056 1D5A5950
	v_mfma_f32_16x16x32_fp8_fp8 v[86:89], a[82:83], a[46:47], v[86:89]// 000000005064: D3F30056 1D5A5D52
	v_mfma_f32_16x16x32_fp8_fp8 v[86:89], a[84:85], a[48:49], v[86:89]// 00000000506C: D3F30056 1D5A6154
	ds_write_b32 v23, v80 offset:16656                         // 000000005074: D81A4110 00005017
	ds_write_b32 v23, v81 offset:16728                         // 00000000507C: D81A4158 00005117
	v_mfma_f32_16x16x32_fp8_fp8 v[86:89], a[86:87], a[50:51], v[86:89]// 000000005084: D3F30056 1D5A6556
	buffer_load_dword v76, v40, s[20:23], 0 offen              // 00000000508C: E0501000 80054C28
	buffer_load_dword v77, v41, s[20:23], 0 offen              // 000000005094: E0501000 80054D29
	v_mfma_f32_16x16x32_fp8_fp8 v[86:89], a[88:89], a[52:53], v[86:89]// 00000000509C: D3F30056 1D5A6958
	s_waitcnt lgkmcnt(4)                                       // 0000000050A4: BF8CC47F
	s_barrier                                                  // 0000000050A8: BF8A0000
	v_mfma_f32_16x16x32_fp8_fp8 v[86:89], a[90:91], a[54:55], v[86:89]// 0000000050AC: D3F30056 1D5A6D5A
	v_mfma_f32_16x16x32_fp8_fp8 v[86:89], a[92:93], a[56:57], v[86:89]// 0000000050B4: D3F30056 1D5A715C
	v_mfma_f32_16x16x32_fp8_fp8 v[86:89], a[94:95], a[58:59], v[86:89]// 0000000050BC: D3F30056 1D5A755E
	v_mfma_f32_16x16x32_fp8_fp8 v[86:89], a[96:97], a[60:61], v[86:89]// 0000000050C4: D3F30056 1D5A7960
	v_mfma_f32_16x16x32_fp8_fp8 v[86:89], a[98:99], a[62:63], v[86:89]// 0000000050CC: D3F30056 1D5A7D62
	v_mfma_f32_16x16x32_fp8_fp8 v[86:89], a[100:101], a[64:65], v[86:89]// 0000000050D4: D3F30056 1D5A8164
	v_mfma_f32_16x16x32_fp8_fp8 v[86:89], a[102:103], a[66:67], v[86:89]// 0000000050DC: D3F30056 1D5A8566
	v_mfma_f32_16x16x32_fp8_fp8 v[86:89], a[104:105], a[68:69], v[86:89]// 0000000050E4: D3F30056 1D5A8968
	v_mfma_f32_16x16x32_fp8_fp8 v[86:89], a[106:107], a[70:71], v[86:89]// 0000000050EC: D3F30056 1D5A8D6A
	s_cmp_le_i32 s83, s82                                      // 0000000050F4: BF055253
	s_cbranch_scc1 label_0BA2                                  // 0000000050F8: BF850023
	s_add_u32 s57, s82, 0                                      // 0000000050FC: 80398052
	v_mov_b32_e32 v38, s57                                     // 000000005100: 7E4C0239
	s_sub_u32 s56, s83, 63                                     // 000000005104: 80B8BF53
	s_mul_i32 s57, s7, 16                                      // 000000005108: 92399007
	v_lshrrev_b32_e32 v47, 4, v0                               // 00000000510C: 205E0084
	v_mul_i32_i24_e32 v47, 4, v47                              // 000000005110: 0C5E5E84
	v_add_u32_e32 v47, s56, v47                                // 000000005114: 685E5E38
	v_add_u32_e32 v47, s57, v47                                // 000000005118: 685E5E39
	v_add_u32_e32 v48, 1, v47                                  // 00000000511C: 68605E81
	v_add_u32_e32 v49, 2, v47                                  // 000000005120: 68625E82
	v_add_u32_e32 v50, 3, v47                                  // 000000005124: 68645E83
	v_cmp_le_u32_e64 s[34:35], v47, v38                        // 000000005128: D0CB0022 00024D2F
	v_add_u32_e32 v47, 64, v47                                 // 000000005130: 685E5EC0
	s_nop 0                                                    // 000000005134: BF800000
	v_cndmask_b32_e64 v82, v11, v82, s[34:35]                  // 000000005138: D1000052 008AA50B
	v_cmp_le_u32_e64 s[34:35], v48, v38                        // 000000005140: D0CB0022 00024D30
	v_add_u32_e32 v48, 64, v48                                 // 000000005148: 686060C0
	s_nop 0                                                    // 00000000514C: BF800000
	v_cndmask_b32_e64 v83, v11, v83, s[34:35]                  // 000000005150: D1000053 008AA70B
	v_cmp_le_u32_e64 s[34:35], v49, v38                        // 000000005158: D0CB0022 00024D31
	v_add_u32_e32 v49, 64, v49                                 // 000000005160: 686262C0
	s_nop 0                                                    // 000000005164: BF800000
	v_cndmask_b32_e64 v84, v11, v84, s[34:35]                  // 000000005168: D1000054 008AA90B
	v_cmp_le_u32_e64 s[34:35], v50, v38                        // 000000005170: D0CB0022 00024D32
	v_add_u32_e32 v50, 64, v50                                 // 000000005178: 686464C0
	s_nop 0                                                    // 00000000517C: BF800000
	v_cndmask_b32_e64 v85, v11, v85, s[34:35]                  // 000000005180: D1000055 008AAB0B

0000000000005188 <label_0BA2>:
	v_mov_b32_e32 v8, v82                                      // 000000005188: 7E100352
	v_max3_f32 v8, v82, v83, v8                                // 00000000518C: D1D30008 0422A752
	v_max3_f32 v8, v84, v85, v8                                // 000000005194: D1D30008 0422AB54
	ds_write_b32 v5, v8 offset:21120                           // 00000000519C: D81A5280 00000805
	v_perm_b32 v34, v156, v154, s54                            // 0000000051A4: D1ED0022 00DB359C
	v_perm_b32 v35, v156, v154, s55                            // 0000000051AC: D1ED0023 00DF359C
	v_perm_b32 v36, v160, v158, s54                            // 0000000051B4: D1ED0024 00DB3DA0
	v_perm_b32 v37, v160, v158, s55                            // 0000000051BC: D1ED0025 00DF3DA0
	v_perm_b32 v218, v36, v34, s53                             // 0000000051C4: D1ED00DA 00D64524
	v_perm_b32 v219, v36, v34, s52                             // 0000000051CC: D1ED00DB 00D24524
	v_perm_b32 v220, v37, v35, s53                             // 0000000051D4: D1ED00DC 00D64725
	v_perm_b32 v221, v37, v35, s52                             // 0000000051DC: D1ED00DD 00D24725
	v_accvgpr_write_b32 a108, v218                             // 0000000051E4: D3D9406C 180001DA
	v_accvgpr_write_b32 a112, v219                             // 0000000051EC: D3D94070 180001DB
	v_accvgpr_write_b32 a116, v220                             // 0000000051F4: D3D94074 180001DC
	v_accvgpr_write_b32 a120, v221                             // 0000000051FC: D3D94078 180001DD
	v_perm_b32 v34, v157, v155, s54                            // 000000005204: D1ED0022 00DB379D
	v_perm_b32 v35, v157, v155, s55                            // 00000000520C: D1ED0023 00DF379D
	v_perm_b32 v36, v161, v159, s54                            // 000000005214: D1ED0024 00DB3FA1
	v_perm_b32 v37, v161, v159, s55                            // 00000000521C: D1ED0025 00DF3FA1
	v_perm_b32 v218, v36, v34, s53                             // 000000005224: D1ED00DA 00D64524
	v_perm_b32 v219, v36, v34, s52                             // 00000000522C: D1ED00DB 00D24524
	v_perm_b32 v220, v37, v35, s53                             // 000000005234: D1ED00DC 00D64725
	v_perm_b32 v221, v37, v35, s52                             // 00000000523C: D1ED00DD 00D24725
	v_accvgpr_write_b32 a124, v218                             // 000000005244: D3D9407C 180001DA
	v_accvgpr_write_b32 a128, v219                             // 00000000524C: D3D94080 180001DB
	v_accvgpr_write_b32 a132, v220                             // 000000005254: D3D94084 180001DC
	v_accvgpr_write_b32 a136, v221                             // 00000000525C: D3D94088 180001DD
	s_waitcnt lgkmcnt(0)                                       // 000000005264: BF8CC07F
	s_barrier                                                  // 000000005268: BF8A0000
	ds_read_b32 v58, v4 offset:21120                           // 00000000526C: D86C5280 3A000004
	buffer_load_dword v154, v42, s[20:23], 0 offen             // 000000005274: E0501000 80059A2A
	buffer_load_dword v155, v42, s[20:23], 0 offen offset:64   // 00000000527C: E0501040 80059B2A
	ds_read_b32 v59, v4 offset:21184                           // 000000005284: D86C52C0 3B000004
	ds_read_b32 v60, v4 offset:21248                           // 00000000528C: D86C5300 3C000004
	ds_read_b32 v61, v4 offset:21312                           // 000000005294: D86C5340 3D000004
	ds_read_b32 v62, v4 offset:21376                           // 00000000529C: D86C5380 3E000004
	ds_read_b32 v63, v4 offset:21440                           // 0000000052A4: D86C53C0 3F000004
	ds_read_b32 v64, v4 offset:21504                           // 0000000052AC: D86C5400 40000004
	ds_read_b32 v65, v4 offset:21568                           // 0000000052B4: D86C5440 41000004
	ds_read_b32 v66, v4 offset:21632                           // 0000000052BC: D86C5480 42000004
	buffer_load_dword v156, v43, s[20:23], 0 offen             // 0000000052C4: E0501000 80059C2B
	buffer_load_dword v157, v43, s[20:23], 0 offen offset:64   // 0000000052CC: E0501040 80059D2B
	ds_read_b32 v67, v4 offset:21696                           // 0000000052D4: D86C54C0 43000004
	ds_read_b32 v68, v4 offset:21760                           // 0000000052DC: D86C5500 44000004
	ds_read_b32 v69, v4 offset:21824                           // 0000000052E4: D86C5540 45000004
	ds_read_b32 v70, v4 offset:21888                           // 0000000052EC: D86C5580 46000004
	ds_read_b32 v71, v4 offset:21952                           // 0000000052F4: D86C55C0 47000004
	ds_read_b32 v72, v4 offset:22016                           // 0000000052FC: D86C5600 48000004
	ds_read_b32 v73, v4 offset:22080                           // 000000005304: D86C5640 49000004
	v_perm_b32 v34, v164, v162, s54                            // 00000000530C: D1ED0022 00DB45A4
	v_perm_b32 v35, v164, v162, s55                            // 000000005314: D1ED0023 00DF45A4
	v_perm_b32 v36, v168, v166, s54                            // 00000000531C: D1ED0024 00DB4DA8
	v_perm_b32 v37, v168, v166, s55                            // 000000005324: D1ED0025 00DF4DA8
	v_perm_b32 v218, v36, v34, s53                             // 00000000532C: D1ED00DA 00D64524
	v_perm_b32 v219, v36, v34, s52                             // 000000005334: D1ED00DB 00D24524
	v_perm_b32 v220, v37, v35, s53                             // 00000000533C: D1ED00DC 00D64725
	v_perm_b32 v221, v37, v35, s52                             // 000000005344: D1ED00DD 00D24725
	v_accvgpr_write_b32 a109, v218                             // 00000000534C: D3D9406D 180001DA
	v_accvgpr_write_b32 a113, v219                             // 000000005354: D3D94071 180001DB
	v_accvgpr_write_b32 a117, v220                             // 00000000535C: D3D94075 180001DC
	v_accvgpr_write_b32 a121, v221                             // 000000005364: D3D94079 180001DD
	buffer_load_dword v158, v44, s[20:23], 0 offen             // 00000000536C: E0501000 80059E2C
	buffer_load_dword v159, v44, s[20:23], 0 offen offset:64   // 000000005374: E0501040 80059F2C
	v_perm_b32 v34, v165, v163, s54                            // 00000000537C: D1ED0022 00DB47A5
	v_perm_b32 v35, v165, v163, s55                            // 000000005384: D1ED0023 00DF47A5
	v_perm_b32 v36, v169, v167, s54                            // 00000000538C: D1ED0024 00DB4FA9
	v_perm_b32 v37, v169, v167, s55                            // 000000005394: D1ED0025 00DF4FA9
	v_perm_b32 v218, v36, v34, s53                             // 00000000539C: D1ED00DA 00D64524
	v_perm_b32 v219, v36, v34, s52                             // 0000000053A4: D1ED00DB 00D24524
	v_perm_b32 v220, v37, v35, s53                             // 0000000053AC: D1ED00DC 00D64725
	v_perm_b32 v221, v37, v35, s52                             // 0000000053B4: D1ED00DD 00D24725
	v_accvgpr_write_b32 a125, v218                             // 0000000053BC: D3D9407D 180001DA
	v_accvgpr_write_b32 a129, v219                             // 0000000053C4: D3D94081 180001DB
	v_accvgpr_write_b32 a133, v220                             // 0000000053CC: D3D94085 180001DC
	v_accvgpr_write_b32 a137, v221                             // 0000000053D4: D3D94089 180001DD
	s_waitcnt lgkmcnt(0)                                       // 0000000053DC: BF8CC07F
	v_max3_f32 v8, v58, v59, v8                                // 0000000053E0: D1D30008 0422773A
	v_max3_f32 v8, v60, v61, v8                                // 0000000053E8: D1D30008 04227B3C
	v_max3_f32 v8, v62, v63, v8                                // 0000000053F0: D1D30008 04227F3E
	v_max3_f32 v8, v64, v65, v8                                // 0000000053F8: D1D30008 04228340
	v_max3_f32 v8, v66, v67, v8                                // 000000005400: D1D30008 04228742
	v_max3_f32 v8, v68, v69, v8                                // 000000005408: D1D30008 04228B44
	v_max3_f32 v8, v70, v71, v8                                // 000000005410: D1D30008 04228F46
	v_max3_f32 v8, v72, v73, v8                                // 000000005418: D1D30008 04229348
	buffer_load_dword v160, v45, s[20:23], 0 offen             // 000000005420: E0501000 8005A02D
	buffer_load_dword v161, v45, s[20:23], 0 offen offset:64   // 000000005428: E0501040 8005A12D
	v_cmp_eq_u32_e64 s[34:35], v11, v12                        // 000000005430: D0CA0022 0002190B
	v_max_f32_e32 v14, v8, v12                                 // 000000005438: 161C1908
	v_sub_f32_e32 v20, v12, v14                                // 00000000543C: 04281D0C
	v_cndmask_b32_e64 v20, v20, 0, s[34:35]                    // 000000005440: D1000014 00890114
	v_mov_b32_e32 v12, v14                                     // 000000005448: 7E18030E
	v_mul_f32_e32 v9, s5, v14                                  // 00000000544C: 0A121C05
	v_mul_f32_e32 v20, s5, v20                                 // 000000005450: 0A282805
	v_exp_f32_e32 v20, v20                                     // 000000005454: 7E284114
	buffer_load_dword v162, v46, s[20:23], 0 offen             // 000000005458: E0501000 8005A22E
	buffer_load_dword v163, v46, s[20:23], 0 offen offset:64   // 000000005460: E0501040 8005A32E
	v_fma_f32 v82, v82, s5, -v9                                // 000000005468: D1CB0052 84240B52
	v_fma_f32 v83, v83, s5, -v9                                // 000000005470: D1CB0053 84240B53
	v_fma_f32 v84, v84, s5, -v9                                // 000000005478: D1CB0054 84240B54
	v_fma_f32 v85, v85, s5, -v9                                // 000000005480: D1CB0055 84240B55
	v_exp_f32_e32 v82, v82                                     // 000000005488: 7EA44152
	v_exp_f32_e32 v83, v83                                     // 00000000548C: 7EA64153
	v_exp_f32_e32 v84, v84                                     // 000000005490: 7EA84154
	v_exp_f32_e32 v85, v85                                     // 000000005494: 7EAA4155
	buffer_load_dword v164, v47, s[20:23], 0 offen             // 000000005498: E0501000 8005A42F
	buffer_load_dword v165, v47, s[20:23], 0 offen offset:64   // 0000000054A0: E0501040 8005A52F
	v_mul_f32_e32 v15, v20, v15                                // 0000000054A8: 0A1E1F14
	v_mov_b32_e32 v17, v82                                     // 0000000054AC: 7E220352
	v_add_f32_e32 v17, v83, v17                                // 0000000054B0: 02222353
	v_add_f32_e32 v17, v84, v17                                // 0000000054B4: 02222354
	v_add_f32_e32 v17, v85, v17                                // 0000000054B8: 02222355
	v_add_f32_e32 v15, v17, v15                                // 0000000054BC: 021E1F11
	buffer_load_dword v166, v48, s[20:23], 0 offen             // 0000000054C0: E0501000 8005A630
	buffer_load_dword v167, v48, s[20:23], 0 offen offset:64   // 0000000054C8: E0501040 8005A730
	v_cvt_pk_fp8_f32 v82, v82, v83                             // 0000000054D0: D2A20052 0002A752
	v_cvt_pk_fp8_f32 v82, v84, v85 op_sel:[0,0,1]              // 0000000054D8: D2A24052 0002AB54
	ds_write_b32 v7, v82                                       // 0000000054E0: D81A0000 00005207
	buffer_load_dword v168, v49, s[20:23], 0 offen             // 0000000054E8: E0501000 8005A831
	buffer_load_dword v169, v49, s[20:23], 0 offen offset:64   // 0000000054F0: E0501040 8005A931
	s_waitcnt lgkmcnt(0)                                       // 0000000054F8: BF8CC07F
	s_barrier                                                  // 0000000054FC: BF8A0000
	ds_read_b64 v[82:83], v6                                   // 000000005500: D8EC0000 52000006
	ds_read_b64 v[84:85], v6 offset:32                         // 000000005508: D8EC0020 54000006
	v_mov_b32_e32 v34, v20                                     // 000000005510: 7E440314
	v_mov_b32_e32 v35, v20                                     // 000000005514: 7E460314
	v_pk_mul_f32 v[90:91], v[34:35], v[90:91]                  // 000000005518: D3B1405A 1802B522
	v_pk_mul_f32 v[92:93], v[34:35], v[92:93]                  // 000000005520: D3B1405C 1802B922
	v_pk_mul_f32 v[94:95], v[34:35], v[94:95]                  // 000000005528: D3B1405E 1802BD22
	v_pk_mul_f32 v[96:97], v[34:35], v[96:97]                  // 000000005530: D3B14060 1802C122
	v_pk_mul_f32 v[98:99], v[34:35], v[98:99]                  // 000000005538: D3B14062 1802C522
	v_pk_mul_f32 v[100:101], v[34:35], v[100:101]              // 000000005540: D3B14064 1802C922
	v_pk_mul_f32 v[102:103], v[34:35], v[102:103]              // 000000005548: D3B14066 1802CD22
	v_pk_mul_f32 v[104:105], v[34:35], v[104:105]              // 000000005550: D3B14068 1802D122
	v_pk_mul_f32 v[106:107], v[34:35], v[106:107]              // 000000005558: D3B1406A 1802D522
	v_pk_mul_f32 v[108:109], v[34:35], v[108:109]              // 000000005560: D3B1406C 1802D922
	v_pk_mul_f32 v[110:111], v[34:35], v[110:111]              // 000000005568: D3B1406E 1802DD22
	v_pk_mul_f32 v[112:113], v[34:35], v[112:113]              // 000000005570: D3B14070 1802E122
	v_pk_mul_f32 v[114:115], v[34:35], v[114:115]              // 000000005578: D3B14072 1802E522
	v_pk_mul_f32 v[116:117], v[34:35], v[116:117]              // 000000005580: D3B14074 1802E922
	v_pk_mul_f32 v[118:119], v[34:35], v[118:119]              // 000000005588: D3B14076 1802ED22
	v_pk_mul_f32 v[120:121], v[34:35], v[120:121]              // 000000005590: D3B14078 1802F122
	s_waitcnt lgkmcnt(0)                                       // 000000005598: BF8CC07F
	s_cmp_le_i32 s83, s82                                      // 00000000559C: BF055253
	s_cbranch_scc1 label_0CCC                                  // 0000000055A0: BF850023
	s_add_u32 s57, s82, 1                                      // 0000000055A4: 80398152
	v_mov_b32_e32 v38, s57                                     // 0000000055A8: 7E4C0239
	s_sub_u32 s56, s83, 63                                     // 0000000055AC: 80B8BF53
	s_mul_i32 s57, s7, 16                                      // 0000000055B0: 92399007
	v_lshrrev_b32_e32 v47, 4, v0                               // 0000000055B4: 205E0084
	v_mul_i32_i24_e32 v47, 4, v47                              // 0000000055B8: 0C5E5E84
	v_add_u32_e32 v47, s56, v47                                // 0000000055BC: 685E5E38
	v_add_u32_e32 v47, s57, v47                                // 0000000055C0: 685E5E39
	v_add_u32_e32 v48, 1, v47                                  // 0000000055C4: 68605E81
	v_add_u32_e32 v49, 2, v47                                  // 0000000055C8: 68625E82
	v_add_u32_e32 v50, 3, v47                                  // 0000000055CC: 68645E83
	v_cmp_le_u32_e64 s[34:35], v47, v38                        // 0000000055D0: D0CB0022 00024D2F
	v_add_u32_e32 v47, 64, v47                                 // 0000000055D8: 685E5EC0
	s_nop 0                                                    // 0000000055DC: BF800000
	v_cndmask_b32_e64 v86, v11, v86, s[34:35]                  // 0000000055E0: D1000056 008AAD0B
	v_cmp_le_u32_e64 s[34:35], v48, v38                        // 0000000055E8: D0CB0022 00024D30
	v_add_u32_e32 v48, 64, v48                                 // 0000000055F0: 686060C0
	s_nop 0                                                    // 0000000055F4: BF800000
	v_cndmask_b32_e64 v87, v11, v87, s[34:35]                  // 0000000055F8: D1000057 008AAF0B
	v_cmp_le_u32_e64 s[34:35], v49, v38                        // 000000005600: D0CB0022 00024D31
	v_add_u32_e32 v49, 64, v49                                 // 000000005608: 686262C0
	s_nop 0                                                    // 00000000560C: BF800000
	v_cndmask_b32_e64 v88, v11, v88, s[34:35]                  // 000000005610: D1000058 008AB10B
	v_cmp_le_u32_e64 s[34:35], v50, v38                        // 000000005618: D0CB0022 00024D32
	v_add_u32_e32 v50, 64, v50                                 // 000000005620: 686464C0
	s_nop 0                                                    // 000000005624: BF800000
	v_cndmask_b32_e64 v89, v11, v89, s[34:35]                  // 000000005628: D1000059 008AB30B

0000000000005630 <label_0CCC>:
	s_add_u32 s83, s84, s83                                    // 000000005630: 80535354
	v_mov_b32_e32 v8, v86                                      // 000000005634: 7E100356
	v_max3_f32 v8, v86, v87, v8                                // 000000005638: D1D30008 0422AF56
	v_max3_f32 v8, v88, v89, v8                                // 000000005640: D1D30008 0422B358
	ds_write_b32 v5, v8 offset:21120                           // 000000005648: D81A5280 00000805
	v_perm_b32 v34, v172, v170, s54                            // 000000005650: D1ED0022 00DB55AC
	v_perm_b32 v35, v172, v170, s55                            // 000000005658: D1ED0023 00DF55AC
	v_perm_b32 v36, v176, v174, s54                            // 000000005660: D1ED0024 00DB5DB0
	v_perm_b32 v37, v176, v174, s55                            // 000000005668: D1ED0025 00DF5DB0
	v_perm_b32 v218, v36, v34, s53                             // 000000005670: D1ED00DA 00D64524
	v_perm_b32 v219, v36, v34, s52                             // 000000005678: D1ED00DB 00D24524
	v_perm_b32 v220, v37, v35, s53                             // 000000005680: D1ED00DC 00D64725
	v_perm_b32 v221, v37, v35, s52                             // 000000005688: D1ED00DD 00D24725
	v_accvgpr_write_b32 a110, v218                             // 000000005690: D3D9406E 180001DA
	v_accvgpr_write_b32 a114, v219                             // 000000005698: D3D94072 180001DB
	v_accvgpr_write_b32 a118, v220                             // 0000000056A0: D3D94076 180001DC
	v_accvgpr_write_b32 a122, v221                             // 0000000056A8: D3D9407A 180001DD
	v_perm_b32 v34, v173, v171, s54                            // 0000000056B0: D1ED0022 00DB57AD
	v_perm_b32 v35, v173, v171, s55                            // 0000000056B8: D1ED0023 00DF57AD
	v_perm_b32 v36, v177, v175, s54                            // 0000000056C0: D1ED0024 00DB5FB1
	v_perm_b32 v37, v177, v175, s55                            // 0000000056C8: D1ED0025 00DF5FB1
	v_perm_b32 v218, v36, v34, s53                             // 0000000056D0: D1ED00DA 00D64524
	v_perm_b32 v219, v36, v34, s52                             // 0000000056D8: D1ED00DB 00D24524
	v_perm_b32 v220, v37, v35, s53                             // 0000000056E0: D1ED00DC 00D64725
	v_perm_b32 v221, v37, v35, s52                             // 0000000056E8: D1ED00DD 00D24725
	v_accvgpr_write_b32 a126, v218                             // 0000000056F0: D3D9407E 180001DA
	v_accvgpr_write_b32 a130, v219                             // 0000000056F8: D3D94082 180001DB
	v_accvgpr_write_b32 a134, v220                             // 000000005700: D3D94086 180001DC
	v_accvgpr_write_b32 a138, v221                             // 000000005708: D3D9408A 180001DD
	s_waitcnt lgkmcnt(0)                                       // 000000005710: BF8CC07F
	s_barrier                                                  // 000000005714: BF8A0000
	ds_read_b32 v58, v4 offset:21120                           // 000000005718: D86C5280 3A000004
	buffer_load_dword v170, v50, s[20:23], 0 offen             // 000000005720: E0501000 8005AA32
	buffer_load_dword v171, v50, s[20:23], 0 offen offset:64   // 000000005728: E0501040 8005AB32
	ds_read_b32 v59, v4 offset:21184                           // 000000005730: D86C52C0 3B000004
	ds_read_b32 v60, v4 offset:21248                           // 000000005738: D86C5300 3C000004
	ds_read_b32 v61, v4 offset:21312                           // 000000005740: D86C5340 3D000004
	ds_read_b32 v62, v4 offset:21376                           // 000000005748: D86C5380 3E000004
	ds_read_b32 v63, v4 offset:21440                           // 000000005750: D86C53C0 3F000004
	ds_read_b32 v64, v4 offset:21504                           // 000000005758: D86C5400 40000004
	ds_read_b32 v65, v4 offset:21568                           // 000000005760: D86C5440 41000004
	ds_read_b32 v66, v4 offset:21632                           // 000000005768: D86C5480 42000004
	buffer_load_dword v172, v51, s[20:23], 0 offen             // 000000005770: E0501000 8005AC33
	buffer_load_dword v173, v51, s[20:23], 0 offen offset:64   // 000000005778: E0501040 8005AD33
	ds_read_b32 v67, v4 offset:21696                           // 000000005780: D86C54C0 43000004
	ds_read_b32 v68, v4 offset:21760                           // 000000005788: D86C5500 44000004
	ds_read_b32 v69, v4 offset:21824                           // 000000005790: D86C5540 45000004
	ds_read_b32 v70, v4 offset:21888                           // 000000005798: D86C5580 46000004
	ds_read_b32 v71, v4 offset:21952                           // 0000000057A0: D86C55C0 47000004
	ds_read_b32 v72, v4 offset:22016                           // 0000000057A8: D86C5600 48000004
	ds_read_b32 v73, v4 offset:22080                           // 0000000057B0: D86C5640 49000004
	v_perm_b32 v34, v180, v178, s54                            // 0000000057B8: D1ED0022 00DB65B4
	v_perm_b32 v35, v180, v178, s55                            // 0000000057C0: D1ED0023 00DF65B4
	v_perm_b32 v36, v184, v182, s54                            // 0000000057C8: D1ED0024 00DB6DB8
	v_perm_b32 v37, v184, v182, s55                            // 0000000057D0: D1ED0025 00DF6DB8
	v_perm_b32 v218, v36, v34, s53                             // 0000000057D8: D1ED00DA 00D64524
	v_perm_b32 v219, v36, v34, s52                             // 0000000057E0: D1ED00DB 00D24524
	v_perm_b32 v220, v37, v35, s53                             // 0000000057E8: D1ED00DC 00D64725
	v_perm_b32 v221, v37, v35, s52                             // 0000000057F0: D1ED00DD 00D24725
	v_accvgpr_write_b32 a111, v218                             // 0000000057F8: D3D9406F 180001DA
	v_accvgpr_write_b32 a115, v219                             // 000000005800: D3D94073 180001DB
	v_accvgpr_write_b32 a119, v220                             // 000000005808: D3D94077 180001DC
	v_accvgpr_write_b32 a123, v221                             // 000000005810: D3D9407B 180001DD
	buffer_load_dword v174, v52, s[20:23], 0 offen             // 000000005818: E0501000 8005AE34
	buffer_load_dword v175, v52, s[20:23], 0 offen offset:64   // 000000005820: E0501040 8005AF34
	v_perm_b32 v34, v181, v179, s54                            // 000000005828: D1ED0022 00DB67B5
	v_perm_b32 v35, v181, v179, s55                            // 000000005830: D1ED0023 00DF67B5
	v_perm_b32 v36, v185, v183, s54                            // 000000005838: D1ED0024 00DB6FB9
	v_perm_b32 v37, v185, v183, s55                            // 000000005840: D1ED0025 00DF6FB9
	v_perm_b32 v218, v36, v34, s53                             // 000000005848: D1ED00DA 00D64524
	v_perm_b32 v219, v36, v34, s52                             // 000000005850: D1ED00DB 00D24524
	v_perm_b32 v220, v37, v35, s53                             // 000000005858: D1ED00DC 00D64725
	v_perm_b32 v221, v37, v35, s52                             // 000000005860: D1ED00DD 00D24725
	v_accvgpr_write_b32 a127, v218                             // 000000005868: D3D9407F 180001DA
	v_accvgpr_write_b32 a131, v219                             // 000000005870: D3D94083 180001DB
	v_accvgpr_write_b32 a135, v220                             // 000000005878: D3D94087 180001DC
	v_accvgpr_write_b32 a139, v221                             // 000000005880: D3D9408B 180001DD
	s_waitcnt lgkmcnt(0)                                       // 000000005888: BF8CC07F
	v_max3_f32 v8, v58, v59, v8                                // 00000000588C: D1D30008 0422773A
	v_max3_f32 v8, v60, v61, v8                                // 000000005894: D1D30008 04227B3C
	v_max3_f32 v8, v62, v63, v8                                // 00000000589C: D1D30008 04227F3E
	v_max3_f32 v8, v64, v65, v8                                // 0000000058A4: D1D30008 04228340
	v_max3_f32 v8, v66, v67, v8                                // 0000000058AC: D1D30008 04228742
	v_max3_f32 v8, v68, v69, v8                                // 0000000058B4: D1D30008 04228B44
	v_max3_f32 v8, v70, v71, v8                                // 0000000058BC: D1D30008 04228F46
	v_max3_f32 v8, v72, v73, v8                                // 0000000058C4: D1D30008 04229348
	buffer_load_dword v176, v53, s[20:23], 0 offen             // 0000000058CC: E0501000 8005B035
	buffer_load_dword v177, v53, s[20:23], 0 offen offset:64   // 0000000058D4: E0501040 8005B135
	v_cmp_eq_u32_e64 s[34:35], v11, v13                        // 0000000058DC: D0CA0022 00021B0B
	v_max_f32_e32 v14, v8, v13                                 // 0000000058E4: 161C1B08
	v_sub_f32_e32 v21, v13, v14                                // 0000000058E8: 042A1D0D
	v_cndmask_b32_e64 v21, v21, 0, s[34:35]                    // 0000000058EC: D1000015 00890115
	v_mov_b32_e32 v13, v14                                     // 0000000058F4: 7E1A030E
	v_mul_f32_e32 v9, s5, v14                                  // 0000000058F8: 0A121C05
	v_mul_f32_e32 v21, s5, v21                                 // 0000000058FC: 0A2A2A05
	v_exp_f32_e32 v21, v21                                     // 000000005900: 7E2A4115
	buffer_load_dword v178, v54, s[20:23], 0 offen             // 000000005904: E0501000 8005B236
	buffer_load_dword v179, v54, s[20:23], 0 offen offset:64   // 00000000590C: E0501040 8005B336
	v_fma_f32 v86, v86, s5, -v9                                // 000000005914: D1CB0056 84240B56
	v_fma_f32 v87, v87, s5, -v9                                // 00000000591C: D1CB0057 84240B57
	v_fma_f32 v88, v88, s5, -v9                                // 000000005924: D1CB0058 84240B58
	v_fma_f32 v89, v89, s5, -v9                                // 00000000592C: D1CB0059 84240B59
	v_exp_f32_e32 v86, v86                                     // 000000005934: 7EAC4156
	v_exp_f32_e32 v87, v87                                     // 000000005938: 7EAE4157
	v_exp_f32_e32 v88, v88                                     // 00000000593C: 7EB04158
	v_exp_f32_e32 v89, v89                                     // 000000005940: 7EB24159
	buffer_load_dword v180, v55, s[20:23], 0 offen             // 000000005944: E0501000 8005B437
	buffer_load_dword v181, v55, s[20:23], 0 offen offset:64   // 00000000594C: E0501040 8005B537
	v_mul_f32_e32 v16, v21, v16                                // 000000005954: 0A202115
	v_mov_b32_e32 v17, v86                                     // 000000005958: 7E220356
	v_add_f32_e32 v17, v87, v17                                // 00000000595C: 02222357
	v_add_f32_e32 v17, v88, v17                                // 000000005960: 02222358
	v_add_f32_e32 v17, v89, v17                                // 000000005964: 02222359
	;; [unrolled: 1-line block ×3, first 2 shown]
	buffer_load_dword v182, v56, s[20:23], 0 offen             // 00000000596C: E0501000 8005B638
	buffer_load_dword v183, v56, s[20:23], 0 offen offset:64   // 000000005974: E0501040 8005B738
	v_cvt_pk_fp8_f32 v86, v86, v87                             // 00000000597C: D2A20056 0002AF56
	v_cvt_pk_fp8_f32 v86, v88, v89 op_sel:[0,0,1]              // 000000005984: D2A24056 0002B358
	ds_write_b32 v7, v86                                       // 00000000598C: D81A0000 00005607
	buffer_load_dword v184, v57, s[20:23], 0 offen             // 000000005994: E0501000 8005B839
	buffer_load_dword v185, v57, s[20:23], 0 offen offset:64   // 00000000599C: E0501040 8005B939
	v_mov_b32_e32 v34, v21                                     // 0000000059A4: 7E440315
	v_mov_b32_e32 v35, v21                                     // 0000000059A8: 7E460315
	v_pk_mul_f32 v[122:123], v[34:35], v[122:123]              // 0000000059AC: D3B1407A 1802F522
	v_pk_mul_f32 v[124:125], v[34:35], v[124:125]              // 0000000059B4: D3B1407C 1802F922
	v_pk_mul_f32 v[126:127], v[34:35], v[126:127]              // 0000000059BC: D3B1407E 1802FD22
	v_pk_mul_f32 v[128:129], v[34:35], v[128:129]              // 0000000059C4: D3B14080 18030122
	v_pk_mul_f32 v[130:131], v[34:35], v[130:131]              // 0000000059CC: D3B14082 18030522
	v_pk_mul_f32 v[132:133], v[34:35], v[132:133]              // 0000000059D4: D3B14084 18030922
	v_pk_mul_f32 v[134:135], v[34:35], v[134:135]              // 0000000059DC: D3B14086 18030D22
	v_pk_mul_f32 v[136:137], v[34:35], v[136:137]              // 0000000059E4: D3B14088 18031122
	v_pk_mul_f32 v[138:139], v[34:35], v[138:139]              // 0000000059EC: D3B1408A 18031522
	v_pk_mul_f32 v[140:141], v[34:35], v[140:141]              // 0000000059F4: D3B1408C 18031922
	v_pk_mul_f32 v[142:143], v[34:35], v[142:143]              // 0000000059FC: D3B1408E 18031D22
	v_pk_mul_f32 v[144:145], v[34:35], v[144:145]              // 000000005A04: D3B14090 18032122
	v_pk_mul_f32 v[146:147], v[34:35], v[146:147]              // 000000005A0C: D3B14092 18032522
	v_pk_mul_f32 v[148:149], v[34:35], v[148:149]              // 000000005A14: D3B14094 18032922
	v_pk_mul_f32 v[150:151], v[34:35], v[150:151]              // 000000005A1C: D3B14096 18032D22
	v_pk_mul_f32 v[152:153], v[34:35], v[152:153]              // 000000005A24: D3B14098 18033122
	s_waitcnt lgkmcnt(0)                                       // 000000005A2C: BF8CC07F
	s_barrier                                                  // 000000005A30: BF8A0000
	ds_read_b64 v[86:87], v6                                   // 000000005A34: D8EC0000 56000006
	ds_read_b64 v[88:89], v6 offset:32                         // 000000005A3C: D8EC0020 58000006
	v_mul_u32_u24_dpp v42, v27, v10 row_newbcast:0 row_mask:0xf bank_mask:0xf// 000000005A44: 105414FA FF01501B
	v_mul_u32_u24_dpp v43, v27, v10 row_newbcast:1 row_mask:0xf bank_mask:0xf// 000000005A4C: 105614FA FF01511B
	v_mul_u32_u24_dpp v44, v27, v10 row_newbcast:2 row_mask:0xf bank_mask:0xf// 000000005A54: 105814FA FF01521B
	v_mul_u32_u24_dpp v45, v27, v10 row_newbcast:3 row_mask:0xf bank_mask:0xf// 000000005A5C: 105A14FA FF01531B
	v_mul_u32_u24_dpp v46, v27, v10 row_newbcast:4 row_mask:0xf bank_mask:0xf// 000000005A64: 105C14FA FF01541B
	v_mul_u32_u24_dpp v47, v27, v10 row_newbcast:5 row_mask:0xf bank_mask:0xf// 000000005A6C: 105E14FA FF01551B
	v_mul_u32_u24_dpp v48, v27, v10 row_newbcast:6 row_mask:0xf bank_mask:0xf// 000000005A74: 106014FA FF01561B
	v_mul_u32_u24_dpp v49, v27, v10 row_newbcast:7 row_mask:0xf bank_mask:0xf// 000000005A7C: 106214FA FF01571B
	v_mul_u32_u24_dpp v50, v27, v10 row_newbcast:8 row_mask:0xf bank_mask:0xf// 000000005A84: 106414FA FF01581B
	v_mul_u32_u24_dpp v51, v27, v10 row_newbcast:9 row_mask:0xf bank_mask:0xf// 000000005A8C: 106614FA FF01591B
	v_mul_u32_u24_dpp v52, v27, v10 row_newbcast:10 row_mask:0xf bank_mask:0xf// 000000005A94: 106814FA FF015A1B
	v_mul_u32_u24_dpp v53, v27, v10 row_newbcast:11 row_mask:0xf bank_mask:0xf// 000000005A9C: 106A14FA FF015B1B
	v_mul_u32_u24_dpp v54, v27, v10 row_newbcast:12 row_mask:0xf bank_mask:0xf// 000000005AA4: 106C14FA FF015C1B
	v_mul_u32_u24_dpp v55, v27, v10 row_newbcast:13 row_mask:0xf bank_mask:0xf// 000000005AAC: 106E14FA FF015D1B
	v_mul_u32_u24_dpp v56, v27, v10 row_newbcast:14 row_mask:0xf bank_mask:0xf// 000000005AB4: 107014FA FF015E1B
	v_mul_u32_u24_dpp v57, v27, v10 row_newbcast:15 row_mask:0xf bank_mask:0xf// 000000005ABC: 107214FA FF015F1B
	s_mov_b32 s56, m0                                          // 000000005AC4: BEB8007C
	s_set_gpr_idx_on s51, gpr_idx(SRC0)                        // 000000005AC8: BF110133
	v_add_u32_e32 v38, v42, v3                                 // 000000005ACC: 684C072A
	v_add_u32_e32 v39, v43, v3                                 // 000000005AD0: 684E072B
	v_add_u32_e32 v40, v44, v3                                 // 000000005AD4: 6850072C
	v_add_u32_e32 v41, v45, v3                                 // 000000005AD8: 6852072D
	s_set_gpr_idx_off                                          // 000000005ADC: BF9C0000
	s_mov_b32 m0, s56                                          // 000000005AE0: BEFC0038
	v_add_u32_e32 v42, v42, v2                                 // 000000005AE4: 6854052A
	v_add_u32_e32 v43, v43, v2                                 // 000000005AE8: 6856052B
	v_add_u32_e32 v44, v44, v2                                 // 000000005AEC: 6858052C
	v_add_u32_e32 v45, v45, v2                                 // 000000005AF0: 685A052D
	v_add_u32_e32 v46, v46, v2                                 // 000000005AF4: 685C052E
	v_add_u32_e32 v47, v47, v2                                 // 000000005AF8: 685E052F
	v_add_u32_e32 v48, v48, v2                                 // 000000005AFC: 68600530
	v_add_u32_e32 v49, v49, v2                                 // 000000005B00: 68620531
	v_add_u32_e32 v50, v50, v2                                 // 000000005B04: 68640532
	v_add_u32_e32 v51, v51, v2                                 // 000000005B08: 68660533
	v_add_u32_e32 v52, v52, v2                                 // 000000005B0C: 68680534
	v_add_u32_e32 v53, v53, v2                                 // 000000005B10: 686A0535
	v_add_u32_e32 v54, v54, v2                                 // 000000005B14: 686C0536
	v_add_u32_e32 v55, v55, v2                                 // 000000005B18: 686E0537
	v_add_u32_e32 v56, v56, v2                                 // 000000005B1C: 68700538
	v_add_u32_e32 v57, v57, v2                                 // 000000005B20: 68720539
	s_waitcnt lgkmcnt(0)                                       // 000000005B24: BF8CC07F
	s_waitcnt vmcnt(37)                                        // 000000005B28: BF8C8F75
	v_mfma_f32_16x16x32_fp8_fp8 v[90:93], a[108:109], v[82:83], v[90:93]// 000000005B2C: D3F3005A 0D6AA56C
	ds_write_b32 v22, v202                                     // 000000005B34: D81A0000 0000CA16
	ds_write_b32 v22, v203 offset:64                           // 000000005B3C: D81A0040 0000CB16
	v_mfma_f32_16x16x32_fp8_fp8 v[90:93], a[110:111], v[84:85], v[90:93]// 000000005B44: D3F3005A 0D6AA96E
	v_mfma_f32_16x16x32_fp8_fp8 v[94:97], a[112:113], v[82:83], v[94:97]// 000000005B4C: D3F3005E 0D7AA570
	ds_write_b32 v22, v204 offset:4128                         // 000000005B54: D81A1020 0000CC16
	ds_write_b32 v22, v205 offset:4192                         // 000000005B5C: D81A1060 0000CD16
	v_mfma_f32_16x16x32_fp8_fp8 v[94:97], a[114:115], v[84:85], v[94:97]// 000000005B64: D3F3005E 0D7AA972
	v_mfma_f32_16x16x32_fp8_fp8 v[98:101], a[116:117], v[82:83], v[98:101]// 000000005B6C: D3F30062 0D8AA574
	ds_write_b32 v22, v206 offset:8256                         // 000000005B74: D81A2040 0000CE16
	ds_write_b32 v22, v207 offset:8320                         // 000000005B7C: D81A2080 0000CF16
	v_mfma_f32_16x16x32_fp8_fp8 v[98:101], a[118:119], v[84:85], v[98:101]// 000000005B84: D3F30062 0D8AA976
	v_mfma_f32_16x16x32_fp8_fp8 v[102:105], a[120:121], v[82:83], v[102:105]// 000000005B8C: D3F30066 0D9AA578
	ds_write_b32 v22, v208 offset:12384                        // 000000005B94: D81A3060 0000D016
	ds_write_b32 v22, v209 offset:12448                        // 000000005B9C: D81A30A0 0000D116
	v_mfma_f32_16x16x32_fp8_fp8 v[102:105], a[122:123], v[84:85], v[102:105]// 000000005BA4: D3F30066 0D9AA97A
	v_mfma_f32_16x16x32_fp8_fp8 v[106:109], a[124:125], v[82:83], v[106:109]// 000000005BAC: D3F3006A 0DAAA57C
	ds_write_b32 v22, v210 offset:512                          // 000000005BB4: D81A0200 0000D216
	ds_write_b32 v22, v211 offset:576                          // 000000005BBC: D81A0240 0000D316
	v_mfma_f32_16x16x32_fp8_fp8 v[106:109], a[126:127], v[84:85], v[106:109]// 000000005BC4: D3F3006A 0DAAA97E
	v_mfma_f32_16x16x32_fp8_fp8 v[110:113], a[128:129], v[82:83], v[110:113]// 000000005BCC: D3F3006E 0DBAA580
	ds_write_b32 v22, v212 offset:4640                         // 000000005BD4: D81A1220 0000D416
	ds_write_b32 v22, v213 offset:4704                         // 000000005BDC: D81A1260 0000D516
	v_mfma_f32_16x16x32_fp8_fp8 v[110:113], a[130:131], v[84:85], v[110:113]// 000000005BE4: D3F3006E 0DBAA982
	v_mfma_f32_16x16x32_fp8_fp8 v[114:117], a[132:133], v[82:83], v[114:117]// 000000005BEC: D3F30072 0DCAA584
	ds_write_b32 v22, v214 offset:8768                         // 000000005BF4: D81A2240 0000D616
	ds_write_b32 v22, v215 offset:8832                         // 000000005BFC: D81A2280 0000D716
	v_mfma_f32_16x16x32_fp8_fp8 v[114:117], a[134:135], v[84:85], v[114:117]// 000000005C04: D3F30072 0DCAA986
	v_mfma_f32_16x16x32_fp8_fp8 v[118:121], a[136:137], v[82:83], v[118:121]// 000000005C0C: D3F30076 0DDAA588
	ds_write_b32 v22, v216 offset:12896                        // 000000005C14: D81A3260 0000D816
	ds_write_b32 v22, v217 offset:12960                        // 000000005C1C: D81A32A0 0000D916
	v_mfma_f32_16x16x32_fp8_fp8 v[118:121], a[138:139], v[84:85], v[118:121]// 000000005C24: D3F30076 0DDAA98A
	ds_read_b64 a[104:105], v25 offset:16512                   // 000000005C2C: DAEC4080 68000019
	ds_read_b64 a[106:107], v25 offset:16520                   // 000000005C34: DAEC4088 6A000019
	v_mfma_f32_16x16x32_fp8_fp8 v[122:125], a[108:109], v[86:87], v[122:125]// 000000005C3C: D3F3007A 0DEAAD6C
	v_mfma_f32_16x16x32_fp8_fp8 v[122:125], a[110:111], v[88:89], v[122:125]// 000000005C44: D3F3007A 0DEAB16E
	s_waitcnt lgkmcnt(4)                                       // 000000005C4C: BF8CC47F
	s_barrier                                                  // 000000005C50: BF8A0000
	v_mfma_f32_16x16x32_fp8_fp8 v[126:129], a[112:113], v[86:87], v[126:129]// 000000005C54: D3F3007E 0DFAAD70
	ds_read_b128 a[72:75], v24                                 // 000000005C5C: DBFE0000 48000018
	v_mfma_f32_16x16x32_fp8_fp8 v[126:129], a[114:115], v[88:89], v[126:129]// 000000005C64: D3F3007E 0DFAB172
	ds_read_b128 a[76:79], v24 offset:64                       // 000000005C6C: DBFE0040 4C000018
	v_mfma_f32_16x16x32_fp8_fp8 v[130:133], a[116:117], v[86:87], v[130:133]// 000000005C74: D3F30082 0E0AAD74
	ds_read_b128 a[80:83], v24 offset:128                      // 000000005C7C: DBFE0080 50000018
	v_mfma_f32_16x16x32_fp8_fp8 v[130:133], a[118:119], v[88:89], v[130:133]// 000000005C84: D3F30082 0E0AB176
	ds_read_b128 a[84:87], v24 offset:192                      // 000000005C8C: DBFE00C0 54000018
	v_mfma_f32_16x16x32_fp8_fp8 v[134:137], a[120:121], v[86:87], v[134:137]// 000000005C94: D3F30086 0E1AAD78
	ds_read_b128 a[88:91], v24 offset:256                      // 000000005C9C: DBFE0100 58000018
	v_mfma_f32_16x16x32_fp8_fp8 v[134:137], a[122:123], v[88:89], v[134:137]// 000000005CA4: D3F30086 0E1AB17A
	ds_read_b128 a[92:95], v24 offset:320                      // 000000005CAC: DBFE0140 5C000018
	v_mfma_f32_16x16x32_fp8_fp8 v[138:141], a[124:125], v[86:87], v[138:141]// 000000005CB4: D3F3008A 0E2AAD7C
	ds_read_b128 a[96:99], v24 offset:384                      // 000000005CBC: DBFE0180 60000018
	v_mfma_f32_16x16x32_fp8_fp8 v[138:141], a[126:127], v[88:89], v[138:141]// 000000005CC4: D3F3008A 0E2AB17E
	ds_read_b128 a[100:103], v24 offset:448                    // 000000005CCC: DBFE01C0 64000018
	v_mfma_f32_16x16x32_fp8_fp8 v[142:145], a[128:129], v[86:87], v[142:145]// 000000005CD4: D3F3008E 0E3AAD80
	v_mfma_f32_16x16x32_fp8_fp8 v[142:145], a[130:131], v[88:89], v[142:145]// 000000005CDC: D3F3008E 0E3AB182
	v_mfma_f32_16x16x32_fp8_fp8 v[146:149], a[132:133], v[86:87], v[146:149]// 000000005CE4: D3F30092 0E4AAD84
	v_mfma_f32_16x16x32_fp8_fp8 v[146:149], a[134:135], v[88:89], v[146:149]// 000000005CEC: D3F30092 0E4AB186
	v_mfma_f32_16x16x32_fp8_fp8 v[150:153], a[136:137], v[86:87], v[150:153]// 000000005CF4: D3F30096 0E5AAD88
	v_mfma_f32_16x16x32_fp8_fp8 v[150:153], a[138:139], v[88:89], v[150:153]// 000000005CFC: D3F30096 0E5AB18A
	s_addk_i32 s70, 0x1                                        // 000000005D04: B7460001
	s_cmp_lt_i32 s70, s71                                      // 000000005D08: BF044746
	s_cbranch_scc0 label_0AFB                                  // 000000005D0C: BF84FC77
	s_waitcnt vmcnt(16) lgkmcnt(0)                             // 000000005D10: BF8C4070
	s_barrier                                                  // 000000005D14: BF8A0000
	v_mfma_f32_16x16x32_fp8_fp8 v[82:85], a[72:73], a[0:1], 0  // 000000005D18: D3F30052 1A020148
	buffer_load_dword v27, v28, s[24:27], 0 offen              // 000000005D20: E0501000 80061B1C
	v_mfma_f32_16x16x32_fp8_fp8 v[82:85], a[74:75], a[2:3], v[82:85]// 000000005D28: D3F30052 1D4A054A
	ds_write_b32 v22, v154                                     // 000000005D30: D81A0000 00009A16
	ds_write_b32 v22, v155 offset:64                           // 000000005D38: D81A0040 00009B16
	v_mfma_f32_16x16x32_fp8_fp8 v[82:85], a[76:77], a[4:5], v[82:85]// 000000005D40: D3F30052 1D4A094C
	v_mfma_f32_16x16x32_fp8_fp8 v[82:85], a[78:79], a[6:7], v[82:85]// 000000005D48: D3F30052 1D4A0D4E
	ds_write_b32 v22, v156 offset:4128                         // 000000005D50: D81A1020 00009C16
	ds_write_b32 v22, v157 offset:4192                         // 000000005D58: D81A1060 00009D16
	v_mfma_f32_16x16x32_fp8_fp8 v[82:85], a[80:81], a[8:9], v[82:85]// 000000005D60: D3F30052 1D4A1150
	v_mfma_f32_16x16x32_fp8_fp8 v[82:85], a[82:83], a[10:11], v[82:85]// 000000005D68: D3F30052 1D4A1552
	ds_write_b32 v22, v158 offset:8256                         // 000000005D70: D81A2040 00009E16
	ds_write_b32 v22, v159 offset:8320                         // 000000005D78: D81A2080 00009F16
	v_mfma_f32_16x16x32_fp8_fp8 v[82:85], a[84:85], a[12:13], v[82:85]// 000000005D80: D3F30052 1D4A1954
	v_mfma_f32_16x16x32_fp8_fp8 v[82:85], a[86:87], a[14:15], v[82:85]// 000000005D88: D3F30052 1D4A1D56
	ds_write_b32 v22, v160 offset:12384                        // 000000005D90: D81A3060 0000A016
	ds_write_b32 v22, v161 offset:12448                        // 000000005D98: D81A30A0 0000A116
	v_mfma_f32_16x16x32_fp8_fp8 v[82:85], a[88:89], a[16:17], v[82:85]// 000000005DA0: D3F30052 1D4A2158
	v_mfma_f32_16x16x32_fp8_fp8 v[82:85], a[90:91], a[18:19], v[82:85]// 000000005DA8: D3F30052 1D4A255A
	ds_write_b32 v22, v162 offset:512                          // 000000005DB0: D81A0200 0000A216
	ds_write_b32 v22, v163 offset:576                          // 000000005DB8: D81A0240 0000A316
	v_mfma_f32_16x16x32_fp8_fp8 v[82:85], a[92:93], a[20:21], v[82:85]// 000000005DC0: D3F30052 1D4A295C
	v_mfma_f32_16x16x32_fp8_fp8 v[82:85], a[94:95], a[22:23], v[82:85]// 000000005DC8: D3F30052 1D4A2D5E
	ds_write_b32 v22, v164 offset:4640                         // 000000005DD0: D81A1220 0000A416
	ds_write_b32 v22, v165 offset:4704                         // 000000005DD8: D81A1260 0000A516
	v_mfma_f32_16x16x32_fp8_fp8 v[82:85], a[96:97], a[24:25], v[82:85]// 000000005DE0: D3F30052 1D4A3160
	v_mfma_f32_16x16x32_fp8_fp8 v[82:85], a[98:99], a[26:27], v[82:85]// 000000005DE8: D3F30052 1D4A3562
	ds_write_b32 v22, v166 offset:8768                         // 000000005DF0: D81A2240 0000A616
	ds_write_b32 v22, v167 offset:8832                         // 000000005DF8: D81A2280 0000A716
	v_mfma_f32_16x16x32_fp8_fp8 v[82:85], a[100:101], a[28:29], v[82:85]// 000000005E00: D3F30052 1D4A3964
	v_mfma_f32_16x16x32_fp8_fp8 v[82:85], a[102:103], a[30:31], v[82:85]// 000000005E08: D3F30052 1D4A3D66
	ds_write_b32 v22, v168 offset:12896                        // 000000005E10: D81A3260 0000A816
	ds_write_b32 v22, v169 offset:12960                        // 000000005E18: D81A32A0 0000A916
	v_mfma_f32_16x16x32_fp8_fp8 v[82:85], a[104:105], a[32:33], v[82:85]// 000000005E20: D3F30052 1D4A4168
	buffer_load_dword v78, v38, s[20:23], 0 offen              // 000000005E28: E0501000 80054E26
	buffer_load_dword v79, v39, s[20:23], 0 offen              // 000000005E30: E0501000 80054F27
	v_mfma_f32_16x16x32_fp8_fp8 v[82:85], a[106:107], a[34:35], v[82:85]// 000000005E38: D3F30052 1D4A456A
	ds_write_b32 v23, v74 offset:16512                         // 000000005E40: D81A4080 00004A17
	ds_write_b32 v23, v75 offset:16584                         // 000000005E48: D81A40C8 00004B17
	v_add_u32_e32 v28, s73, v28                                // 000000005E50: 68383849
	v_mfma_f32_16x16x32_fp8_fp8 v[86:89], a[72:73], a[36:37], 0// 000000005E54: D3F30056 1A024948
	v_mfma_f32_16x16x32_fp8_fp8 v[86:89], a[74:75], a[38:39], v[86:89]// 000000005E5C: D3F30056 1D5A4D4A
	v_mfma_f32_16x16x32_fp8_fp8 v[86:89], a[76:77], a[40:41], v[86:89]// 000000005E64: D3F30056 1D5A514C
	v_mfma_f32_16x16x32_fp8_fp8 v[86:89], a[78:79], a[42:43], v[86:89]// 000000005E6C: D3F30056 1D5A554E
	v_mfma_f32_16x16x32_fp8_fp8 v[86:89], a[80:81], a[44:45], v[86:89]// 000000005E74: D3F30056 1D5A5950
	v_mfma_f32_16x16x32_fp8_fp8 v[86:89], a[82:83], a[46:47], v[86:89]// 000000005E7C: D3F30056 1D5A5D52
	v_mfma_f32_16x16x32_fp8_fp8 v[86:89], a[84:85], a[48:49], v[86:89]// 000000005E84: D3F30056 1D5A6154
	ds_write_b32 v23, v76 offset:16656                         // 000000005E8C: D81A4110 00004C17
	ds_write_b32 v23, v77 offset:16728                         // 000000005E94: D81A4158 00004D17
	v_mfma_f32_16x16x32_fp8_fp8 v[86:89], a[86:87], a[50:51], v[86:89]// 000000005E9C: D3F30056 1D5A6556
	buffer_load_dword v80, v40, s[20:23], 0 offen              // 000000005EA4: E0501000 80055028
	buffer_load_dword v81, v41, s[20:23], 0 offen              // 000000005EAC: E0501000 80055129
	v_mfma_f32_16x16x32_fp8_fp8 v[86:89], a[88:89], a[52:53], v[86:89]// 000000005EB4: D3F30056 1D5A6958
	s_waitcnt lgkmcnt(4)                                       // 000000005EBC: BF8CC47F
	s_barrier                                                  // 000000005EC0: BF8A0000
	v_mfma_f32_16x16x32_fp8_fp8 v[86:89], a[90:91], a[54:55], v[86:89]// 000000005EC4: D3F30056 1D5A6D5A
	v_mfma_f32_16x16x32_fp8_fp8 v[86:89], a[92:93], a[56:57], v[86:89]// 000000005ECC: D3F30056 1D5A715C
	v_mfma_f32_16x16x32_fp8_fp8 v[86:89], a[94:95], a[58:59], v[86:89]// 000000005ED4: D3F30056 1D5A755E
	v_mfma_f32_16x16x32_fp8_fp8 v[86:89], a[96:97], a[60:61], v[86:89]// 000000005EDC: D3F30056 1D5A7960
	v_mfma_f32_16x16x32_fp8_fp8 v[86:89], a[98:99], a[62:63], v[86:89]// 000000005EE4: D3F30056 1D5A7D62
	v_mfma_f32_16x16x32_fp8_fp8 v[86:89], a[100:101], a[64:65], v[86:89]// 000000005EEC: D3F30056 1D5A8164
	v_mfma_f32_16x16x32_fp8_fp8 v[86:89], a[102:103], a[66:67], v[86:89]// 000000005EF4: D3F30056 1D5A8566
	v_mfma_f32_16x16x32_fp8_fp8 v[86:89], a[104:105], a[68:69], v[86:89]// 000000005EFC: D3F30056 1D5A8968
	v_mfma_f32_16x16x32_fp8_fp8 v[86:89], a[106:107], a[70:71], v[86:89]// 000000005F04: D3F30056 1D5A8D6A
	s_cmp_le_i32 s83, s82                                      // 000000005F0C: BF055253
	s_cbranch_scc1 label_0F28                                  // 000000005F10: BF850023
	s_add_u32 s57, s82, 0                                      // 000000005F14: 80398052
	v_mov_b32_e32 v38, s57                                     // 000000005F18: 7E4C0239
	s_sub_u32 s56, s83, 63                                     // 000000005F1C: 80B8BF53
	s_mul_i32 s57, s7, 16                                      // 000000005F20: 92399007
	v_lshrrev_b32_e32 v47, 4, v0                               // 000000005F24: 205E0084
	v_mul_i32_i24_e32 v47, 4, v47                              // 000000005F28: 0C5E5E84
	v_add_u32_e32 v47, s56, v47                                // 000000005F2C: 685E5E38
	v_add_u32_e32 v47, s57, v47                                // 000000005F30: 685E5E39
	v_add_u32_e32 v48, 1, v47                                  // 000000005F34: 68605E81
	v_add_u32_e32 v49, 2, v47                                  // 000000005F38: 68625E82
	v_add_u32_e32 v50, 3, v47                                  // 000000005F3C: 68645E83
	v_cmp_le_u32_e64 s[34:35], v47, v38                        // 000000005F40: D0CB0022 00024D2F
	v_add_u32_e32 v47, 64, v47                                 // 000000005F48: 685E5EC0
	s_nop 0                                                    // 000000005F4C: BF800000
	v_cndmask_b32_e64 v82, v11, v82, s[34:35]                  // 000000005F50: D1000052 008AA50B
	v_cmp_le_u32_e64 s[34:35], v48, v38                        // 000000005F58: D0CB0022 00024D30
	v_add_u32_e32 v48, 64, v48                                 // 000000005F60: 686060C0
	s_nop 0                                                    // 000000005F64: BF800000
	v_cndmask_b32_e64 v83, v11, v83, s[34:35]                  // 000000005F68: D1000053 008AA70B
	v_cmp_le_u32_e64 s[34:35], v49, v38                        // 000000005F70: D0CB0022 00024D31
	v_add_u32_e32 v49, 64, v49                                 // 000000005F78: 686262C0
	s_nop 0                                                    // 000000005F7C: BF800000
	v_cndmask_b32_e64 v84, v11, v84, s[34:35]                  // 000000005F80: D1000054 008AA90B
	v_cmp_le_u32_e64 s[34:35], v50, v38                        // 000000005F88: D0CB0022 00024D32
	v_add_u32_e32 v50, 64, v50                                 // 000000005F90: 686464C0
	s_nop 0                                                    // 000000005F94: BF800000
	v_cndmask_b32_e64 v85, v11, v85, s[34:35]                  // 000000005F98: D1000055 008AAB0B

0000000000005fa0 <label_0F28>:
	v_mov_b32_e32 v8, v82                                      // 000000005FA0: 7E100352
	v_max3_f32 v8, v82, v83, v8                                // 000000005FA4: D1D30008 0422A752
	v_max3_f32 v8, v84, v85, v8                                // 000000005FAC: D1D30008 0422AB54
	ds_write_b32 v5, v8 offset:21120                           // 000000005FB4: D81A5280 00000805
	v_perm_b32 v34, v188, v186, s54                            // 000000005FBC: D1ED0022 00DB75BC
	v_perm_b32 v35, v188, v186, s55                            // 000000005FC4: D1ED0023 00DF75BC
	v_perm_b32 v36, v192, v190, s54                            // 000000005FCC: D1ED0024 00DB7DC0
	v_perm_b32 v37, v192, v190, s55                            // 000000005FD4: D1ED0025 00DF7DC0
	v_perm_b32 v218, v36, v34, s53                             // 000000005FDC: D1ED00DA 00D64524
	v_perm_b32 v219, v36, v34, s52                             // 000000005FE4: D1ED00DB 00D24524
	v_perm_b32 v220, v37, v35, s53                             // 000000005FEC: D1ED00DC 00D64725
	v_perm_b32 v221, v37, v35, s52                             // 000000005FF4: D1ED00DD 00D24725
	v_accvgpr_write_b32 a108, v218                             // 000000005FFC: D3D9406C 180001DA
	v_accvgpr_write_b32 a112, v219                             // 000000006004: D3D94070 180001DB
	v_accvgpr_write_b32 a116, v220                             // 00000000600C: D3D94074 180001DC
	v_accvgpr_write_b32 a120, v221                             // 000000006014: D3D94078 180001DD
	v_perm_b32 v34, v189, v187, s54                            // 00000000601C: D1ED0022 00DB77BD
	v_perm_b32 v35, v189, v187, s55                            // 000000006024: D1ED0023 00DF77BD
	v_perm_b32 v36, v193, v191, s54                            // 00000000602C: D1ED0024 00DB7FC1
	v_perm_b32 v37, v193, v191, s55                            // 000000006034: D1ED0025 00DF7FC1
	v_perm_b32 v218, v36, v34, s53                             // 00000000603C: D1ED00DA 00D64524
	v_perm_b32 v219, v36, v34, s52                             // 000000006044: D1ED00DB 00D24524
	v_perm_b32 v220, v37, v35, s53                             // 00000000604C: D1ED00DC 00D64725
	v_perm_b32 v221, v37, v35, s52                             // 000000006054: D1ED00DD 00D24725
	v_accvgpr_write_b32 a124, v218                             // 00000000605C: D3D9407C 180001DA
	v_accvgpr_write_b32 a128, v219                             // 000000006064: D3D94080 180001DB
	v_accvgpr_write_b32 a132, v220                             // 00000000606C: D3D94084 180001DC
	v_accvgpr_write_b32 a136, v221                             // 000000006074: D3D94088 180001DD
	s_waitcnt lgkmcnt(0)                                       // 00000000607C: BF8CC07F
	s_barrier                                                  // 000000006080: BF8A0000
	ds_read_b32 v58, v4 offset:21120                           // 000000006084: D86C5280 3A000004
	buffer_load_dword v186, v42, s[20:23], 0 offen             // 00000000608C: E0501000 8005BA2A
	buffer_load_dword v187, v42, s[20:23], 0 offen offset:64   // 000000006094: E0501040 8005BB2A
	ds_read_b32 v59, v4 offset:21184                           // 00000000609C: D86C52C0 3B000004
	ds_read_b32 v60, v4 offset:21248                           // 0000000060A4: D86C5300 3C000004
	ds_read_b32 v61, v4 offset:21312                           // 0000000060AC: D86C5340 3D000004
	ds_read_b32 v62, v4 offset:21376                           // 0000000060B4: D86C5380 3E000004
	ds_read_b32 v63, v4 offset:21440                           // 0000000060BC: D86C53C0 3F000004
	ds_read_b32 v64, v4 offset:21504                           // 0000000060C4: D86C5400 40000004
	ds_read_b32 v65, v4 offset:21568                           // 0000000060CC: D86C5440 41000004
	ds_read_b32 v66, v4 offset:21632                           // 0000000060D4: D86C5480 42000004
	buffer_load_dword v188, v43, s[20:23], 0 offen             // 0000000060DC: E0501000 8005BC2B
	buffer_load_dword v189, v43, s[20:23], 0 offen offset:64   // 0000000060E4: E0501040 8005BD2B
	ds_read_b32 v67, v4 offset:21696                           // 0000000060EC: D86C54C0 43000004
	ds_read_b32 v68, v4 offset:21760                           // 0000000060F4: D86C5500 44000004
	ds_read_b32 v69, v4 offset:21824                           // 0000000060FC: D86C5540 45000004
	ds_read_b32 v70, v4 offset:21888                           // 000000006104: D86C5580 46000004
	ds_read_b32 v71, v4 offset:21952                           // 00000000610C: D86C55C0 47000004
	ds_read_b32 v72, v4 offset:22016                           // 000000006114: D86C5600 48000004
	ds_read_b32 v73, v4 offset:22080                           // 00000000611C: D86C5640 49000004
	v_perm_b32 v34, v196, v194, s54                            // 000000006124: D1ED0022 00DB85C4
	v_perm_b32 v35, v196, v194, s55                            // 00000000612C: D1ED0023 00DF85C4
	v_perm_b32 v36, v200, v198, s54                            // 000000006134: D1ED0024 00DB8DC8
	v_perm_b32 v37, v200, v198, s55                            // 00000000613C: D1ED0025 00DF8DC8
	v_perm_b32 v218, v36, v34, s53                             // 000000006144: D1ED00DA 00D64524
	v_perm_b32 v219, v36, v34, s52                             // 00000000614C: D1ED00DB 00D24524
	v_perm_b32 v220, v37, v35, s53                             // 000000006154: D1ED00DC 00D64725
	v_perm_b32 v221, v37, v35, s52                             // 00000000615C: D1ED00DD 00D24725
	v_accvgpr_write_b32 a109, v218                             // 000000006164: D3D9406D 180001DA
	v_accvgpr_write_b32 a113, v219                             // 00000000616C: D3D94071 180001DB
	v_accvgpr_write_b32 a117, v220                             // 000000006174: D3D94075 180001DC
	v_accvgpr_write_b32 a121, v221                             // 00000000617C: D3D94079 180001DD
	buffer_load_dword v190, v44, s[20:23], 0 offen             // 000000006184: E0501000 8005BE2C
	buffer_load_dword v191, v44, s[20:23], 0 offen offset:64   // 00000000618C: E0501040 8005BF2C
	v_perm_b32 v34, v197, v195, s54                            // 000000006194: D1ED0022 00DB87C5
	v_perm_b32 v35, v197, v195, s55                            // 00000000619C: D1ED0023 00DF87C5
	v_perm_b32 v36, v201, v199, s54                            // 0000000061A4: D1ED0024 00DB8FC9
	v_perm_b32 v37, v201, v199, s55                            // 0000000061AC: D1ED0025 00DF8FC9
	v_perm_b32 v218, v36, v34, s53                             // 0000000061B4: D1ED00DA 00D64524
	v_perm_b32 v219, v36, v34, s52                             // 0000000061BC: D1ED00DB 00D24524
	v_perm_b32 v220, v37, v35, s53                             // 0000000061C4: D1ED00DC 00D64725
	v_perm_b32 v221, v37, v35, s52                             // 0000000061CC: D1ED00DD 00D24725
	v_accvgpr_write_b32 a125, v218                             // 0000000061D4: D3D9407D 180001DA
	v_accvgpr_write_b32 a129, v219                             // 0000000061DC: D3D94081 180001DB
	v_accvgpr_write_b32 a133, v220                             // 0000000061E4: D3D94085 180001DC
	v_accvgpr_write_b32 a137, v221                             // 0000000061EC: D3D94089 180001DD
	s_waitcnt lgkmcnt(0)                                       // 0000000061F4: BF8CC07F
	v_max3_f32 v8, v58, v59, v8                                // 0000000061F8: D1D30008 0422773A
	v_max3_f32 v8, v60, v61, v8                                // 000000006200: D1D30008 04227B3C
	v_max3_f32 v8, v62, v63, v8                                // 000000006208: D1D30008 04227F3E
	v_max3_f32 v8, v64, v65, v8                                // 000000006210: D1D30008 04228340
	v_max3_f32 v8, v66, v67, v8                                // 000000006218: D1D30008 04228742
	v_max3_f32 v8, v68, v69, v8                                // 000000006220: D1D30008 04228B44
	v_max3_f32 v8, v70, v71, v8                                // 000000006228: D1D30008 04228F46
	v_max3_f32 v8, v72, v73, v8                                // 000000006230: D1D30008 04229348
	buffer_load_dword v192, v45, s[20:23], 0 offen             // 000000006238: E0501000 8005C02D
	buffer_load_dword v193, v45, s[20:23], 0 offen offset:64   // 000000006240: E0501040 8005C12D
	v_cmp_eq_u32_e64 s[34:35], v11, v12                        // 000000006248: D0CA0022 0002190B
	v_max_f32_e32 v14, v8, v12                                 // 000000006250: 161C1908
	v_sub_f32_e32 v20, v12, v14                                // 000000006254: 04281D0C
	v_cndmask_b32_e64 v20, v20, 0, s[34:35]                    // 000000006258: D1000014 00890114
	v_mov_b32_e32 v12, v14                                     // 000000006260: 7E18030E
	v_mul_f32_e32 v9, s5, v14                                  // 000000006264: 0A121C05
	v_mul_f32_e32 v20, s5, v20                                 // 000000006268: 0A282805
	v_exp_f32_e32 v20, v20                                     // 00000000626C: 7E284114
	buffer_load_dword v194, v46, s[20:23], 0 offen             // 000000006270: E0501000 8005C22E
	buffer_load_dword v195, v46, s[20:23], 0 offen offset:64   // 000000006278: E0501040 8005C32E
	v_fma_f32 v82, v82, s5, -v9                                // 000000006280: D1CB0052 84240B52
	v_fma_f32 v83, v83, s5, -v9                                // 000000006288: D1CB0053 84240B53
	v_fma_f32 v84, v84, s5, -v9                                // 000000006290: D1CB0054 84240B54
	v_fma_f32 v85, v85, s5, -v9                                // 000000006298: D1CB0055 84240B55
	v_exp_f32_e32 v82, v82                                     // 0000000062A0: 7EA44152
	v_exp_f32_e32 v83, v83                                     // 0000000062A4: 7EA64153
	v_exp_f32_e32 v84, v84                                     // 0000000062A8: 7EA84154
	v_exp_f32_e32 v85, v85                                     // 0000000062AC: 7EAA4155
	buffer_load_dword v196, v47, s[20:23], 0 offen             // 0000000062B0: E0501000 8005C42F
	buffer_load_dword v197, v47, s[20:23], 0 offen offset:64   // 0000000062B8: E0501040 8005C52F
	v_mul_f32_e32 v15, v20, v15                                // 0000000062C0: 0A1E1F14
	v_mov_b32_e32 v17, v82                                     // 0000000062C4: 7E220352
	v_add_f32_e32 v17, v83, v17                                // 0000000062C8: 02222353
	v_add_f32_e32 v17, v84, v17                                // 0000000062CC: 02222354
	v_add_f32_e32 v17, v85, v17                                // 0000000062D0: 02222355
	v_add_f32_e32 v15, v17, v15                                // 0000000062D4: 021E1F11
	buffer_load_dword v198, v48, s[20:23], 0 offen             // 0000000062D8: E0501000 8005C630
	buffer_load_dword v199, v48, s[20:23], 0 offen offset:64   // 0000000062E0: E0501040 8005C730
	v_cvt_pk_fp8_f32 v82, v82, v83                             // 0000000062E8: D2A20052 0002A752
	v_cvt_pk_fp8_f32 v82, v84, v85 op_sel:[0,0,1]              // 0000000062F0: D2A24052 0002AB54
	ds_write_b32 v7, v82                                       // 0000000062F8: D81A0000 00005207
	buffer_load_dword v200, v49, s[20:23], 0 offen             // 000000006300: E0501000 8005C831
	buffer_load_dword v201, v49, s[20:23], 0 offen offset:64   // 000000006308: E0501040 8005C931
	s_waitcnt lgkmcnt(0)                                       // 000000006310: BF8CC07F
	s_barrier                                                  // 000000006314: BF8A0000
	ds_read_b64 v[82:83], v6                                   // 000000006318: D8EC0000 52000006
	ds_read_b64 v[84:85], v6 offset:32                         // 000000006320: D8EC0020 54000006
	v_mov_b32_e32 v34, v20                                     // 000000006328: 7E440314
	v_mov_b32_e32 v35, v20                                     // 00000000632C: 7E460314
	v_pk_mul_f32 v[90:91], v[34:35], v[90:91]                  // 000000006330: D3B1405A 1802B522
	v_pk_mul_f32 v[92:93], v[34:35], v[92:93]                  // 000000006338: D3B1405C 1802B922
	v_pk_mul_f32 v[94:95], v[34:35], v[94:95]                  // 000000006340: D3B1405E 1802BD22
	v_pk_mul_f32 v[96:97], v[34:35], v[96:97]                  // 000000006348: D3B14060 1802C122
	v_pk_mul_f32 v[98:99], v[34:35], v[98:99]                  // 000000006350: D3B14062 1802C522
	v_pk_mul_f32 v[100:101], v[34:35], v[100:101]              // 000000006358: D3B14064 1802C922
	v_pk_mul_f32 v[102:103], v[34:35], v[102:103]              // 000000006360: D3B14066 1802CD22
	v_pk_mul_f32 v[104:105], v[34:35], v[104:105]              // 000000006368: D3B14068 1802D122
	v_pk_mul_f32 v[106:107], v[34:35], v[106:107]              // 000000006370: D3B1406A 1802D522
	v_pk_mul_f32 v[108:109], v[34:35], v[108:109]              // 000000006378: D3B1406C 1802D922
	v_pk_mul_f32 v[110:111], v[34:35], v[110:111]              // 000000006380: D3B1406E 1802DD22
	v_pk_mul_f32 v[112:113], v[34:35], v[112:113]              // 000000006388: D3B14070 1802E122
	v_pk_mul_f32 v[114:115], v[34:35], v[114:115]              // 000000006390: D3B14072 1802E522
	v_pk_mul_f32 v[116:117], v[34:35], v[116:117]              // 000000006398: D3B14074 1802E922
	v_pk_mul_f32 v[118:119], v[34:35], v[118:119]              // 0000000063A0: D3B14076 1802ED22
	v_pk_mul_f32 v[120:121], v[34:35], v[120:121]              // 0000000063A8: D3B14078 1802F122
	s_waitcnt lgkmcnt(0)                                       // 0000000063B0: BF8CC07F
	s_cmp_le_i32 s83, s82                                      // 0000000063B4: BF055253
	s_cbranch_scc1 label_1052                                  // 0000000063B8: BF850023
	s_add_u32 s57, s82, 1                                      // 0000000063BC: 80398152
	v_mov_b32_e32 v38, s57                                     // 0000000063C0: 7E4C0239
	s_sub_u32 s56, s83, 63                                     // 0000000063C4: 80B8BF53
	s_mul_i32 s57, s7, 16                                      // 0000000063C8: 92399007
	v_lshrrev_b32_e32 v47, 4, v0                               // 0000000063CC: 205E0084
	v_mul_i32_i24_e32 v47, 4, v47                              // 0000000063D0: 0C5E5E84
	v_add_u32_e32 v47, s56, v47                                // 0000000063D4: 685E5E38
	v_add_u32_e32 v47, s57, v47                                // 0000000063D8: 685E5E39
	v_add_u32_e32 v48, 1, v47                                  // 0000000063DC: 68605E81
	v_add_u32_e32 v49, 2, v47                                  // 0000000063E0: 68625E82
	v_add_u32_e32 v50, 3, v47                                  // 0000000063E4: 68645E83
	v_cmp_le_u32_e64 s[34:35], v47, v38                        // 0000000063E8: D0CB0022 00024D2F
	v_add_u32_e32 v47, 64, v47                                 // 0000000063F0: 685E5EC0
	s_nop 0                                                    // 0000000063F4: BF800000
	v_cndmask_b32_e64 v86, v11, v86, s[34:35]                  // 0000000063F8: D1000056 008AAD0B
	v_cmp_le_u32_e64 s[34:35], v48, v38                        // 000000006400: D0CB0022 00024D30
	v_add_u32_e32 v48, 64, v48                                 // 000000006408: 686060C0
	s_nop 0                                                    // 00000000640C: BF800000
	v_cndmask_b32_e64 v87, v11, v87, s[34:35]                  // 000000006410: D1000057 008AAF0B
	v_cmp_le_u32_e64 s[34:35], v49, v38                        // 000000006418: D0CB0022 00024D31
	v_add_u32_e32 v49, 64, v49                                 // 000000006420: 686262C0
	s_nop 0                                                    // 000000006424: BF800000
	v_cndmask_b32_e64 v88, v11, v88, s[34:35]                  // 000000006428: D1000058 008AB10B
	v_cmp_le_u32_e64 s[34:35], v50, v38                        // 000000006430: D0CB0022 00024D32
	v_add_u32_e32 v50, 64, v50                                 // 000000006438: 686464C0
	s_nop 0                                                    // 00000000643C: BF800000
	v_cndmask_b32_e64 v89, v11, v89, s[34:35]                  // 000000006440: D1000059 008AB30B

0000000000006448 <label_1052>:
	s_add_u32 s83, s84, s83                                    // 000000006448: 80535354
	v_mov_b32_e32 v8, v86                                      // 00000000644C: 7E100356
	v_max3_f32 v8, v86, v87, v8                                // 000000006450: D1D30008 0422AF56
	v_max3_f32 v8, v88, v89, v8                                // 000000006458: D1D30008 0422B358
	ds_write_b32 v5, v8 offset:21120                           // 000000006460: D81A5280 00000805
	v_perm_b32 v34, v204, v202, s54                            // 000000006468: D1ED0022 00DB95CC
	v_perm_b32 v35, v204, v202, s55                            // 000000006470: D1ED0023 00DF95CC
	v_perm_b32 v36, v208, v206, s54                            // 000000006478: D1ED0024 00DB9DD0
	v_perm_b32 v37, v208, v206, s55                            // 000000006480: D1ED0025 00DF9DD0
	v_perm_b32 v218, v36, v34, s53                             // 000000006488: D1ED00DA 00D64524
	v_perm_b32 v219, v36, v34, s52                             // 000000006490: D1ED00DB 00D24524
	v_perm_b32 v220, v37, v35, s53                             // 000000006498: D1ED00DC 00D64725
	v_perm_b32 v221, v37, v35, s52                             // 0000000064A0: D1ED00DD 00D24725
	v_accvgpr_write_b32 a110, v218                             // 0000000064A8: D3D9406E 180001DA
	v_accvgpr_write_b32 a114, v219                             // 0000000064B0: D3D94072 180001DB
	v_accvgpr_write_b32 a118, v220                             // 0000000064B8: D3D94076 180001DC
	v_accvgpr_write_b32 a122, v221                             // 0000000064C0: D3D9407A 180001DD
	v_perm_b32 v34, v205, v203, s54                            // 0000000064C8: D1ED0022 00DB97CD
	v_perm_b32 v35, v205, v203, s55                            // 0000000064D0: D1ED0023 00DF97CD
	v_perm_b32 v36, v209, v207, s54                            // 0000000064D8: D1ED0024 00DB9FD1
	v_perm_b32 v37, v209, v207, s55                            // 0000000064E0: D1ED0025 00DF9FD1
	v_perm_b32 v218, v36, v34, s53                             // 0000000064E8: D1ED00DA 00D64524
	v_perm_b32 v219, v36, v34, s52                             // 0000000064F0: D1ED00DB 00D24524
	v_perm_b32 v220, v37, v35, s53                             // 0000000064F8: D1ED00DC 00D64725
	v_perm_b32 v221, v37, v35, s52                             // 000000006500: D1ED00DD 00D24725
	v_accvgpr_write_b32 a126, v218                             // 000000006508: D3D9407E 180001DA
	v_accvgpr_write_b32 a130, v219                             // 000000006510: D3D94082 180001DB
	v_accvgpr_write_b32 a134, v220                             // 000000006518: D3D94086 180001DC
	v_accvgpr_write_b32 a138, v221                             // 000000006520: D3D9408A 180001DD
	s_waitcnt lgkmcnt(0)                                       // 000000006528: BF8CC07F
	s_barrier                                                  // 00000000652C: BF8A0000
	ds_read_b32 v58, v4 offset:21120                           // 000000006530: D86C5280 3A000004
	buffer_load_dword v202, v50, s[20:23], 0 offen             // 000000006538: E0501000 8005CA32
	buffer_load_dword v203, v50, s[20:23], 0 offen offset:64   // 000000006540: E0501040 8005CB32
	ds_read_b32 v59, v4 offset:21184                           // 000000006548: D86C52C0 3B000004
	ds_read_b32 v60, v4 offset:21248                           // 000000006550: D86C5300 3C000004
	ds_read_b32 v61, v4 offset:21312                           // 000000006558: D86C5340 3D000004
	ds_read_b32 v62, v4 offset:21376                           // 000000006560: D86C5380 3E000004
	ds_read_b32 v63, v4 offset:21440                           // 000000006568: D86C53C0 3F000004
	ds_read_b32 v64, v4 offset:21504                           // 000000006570: D86C5400 40000004
	ds_read_b32 v65, v4 offset:21568                           // 000000006578: D86C5440 41000004
	ds_read_b32 v66, v4 offset:21632                           // 000000006580: D86C5480 42000004
	buffer_load_dword v204, v51, s[20:23], 0 offen             // 000000006588: E0501000 8005CC33
	buffer_load_dword v205, v51, s[20:23], 0 offen offset:64   // 000000006590: E0501040 8005CD33
	ds_read_b32 v67, v4 offset:21696                           // 000000006598: D86C54C0 43000004
	ds_read_b32 v68, v4 offset:21760                           // 0000000065A0: D86C5500 44000004
	ds_read_b32 v69, v4 offset:21824                           // 0000000065A8: D86C5540 45000004
	ds_read_b32 v70, v4 offset:21888                           // 0000000065B0: D86C5580 46000004
	ds_read_b32 v71, v4 offset:21952                           // 0000000065B8: D86C55C0 47000004
	ds_read_b32 v72, v4 offset:22016                           // 0000000065C0: D86C5600 48000004
	ds_read_b32 v73, v4 offset:22080                           // 0000000065C8: D86C5640 49000004
	v_perm_b32 v34, v212, v210, s54                            // 0000000065D0: D1ED0022 00DBA5D4
	v_perm_b32 v35, v212, v210, s55                            // 0000000065D8: D1ED0023 00DFA5D4
	v_perm_b32 v36, v216, v214, s54                            // 0000000065E0: D1ED0024 00DBADD8
	v_perm_b32 v37, v216, v214, s55                            // 0000000065E8: D1ED0025 00DFADD8
	v_perm_b32 v218, v36, v34, s53                             // 0000000065F0: D1ED00DA 00D64524
	v_perm_b32 v219, v36, v34, s52                             // 0000000065F8: D1ED00DB 00D24524
	v_perm_b32 v220, v37, v35, s53                             // 000000006600: D1ED00DC 00D64725
	v_perm_b32 v221, v37, v35, s52                             // 000000006608: D1ED00DD 00D24725
	v_accvgpr_write_b32 a111, v218                             // 000000006610: D3D9406F 180001DA
	v_accvgpr_write_b32 a115, v219                             // 000000006618: D3D94073 180001DB
	v_accvgpr_write_b32 a119, v220                             // 000000006620: D3D94077 180001DC
	v_accvgpr_write_b32 a123, v221                             // 000000006628: D3D9407B 180001DD
	buffer_load_dword v206, v52, s[20:23], 0 offen             // 000000006630: E0501000 8005CE34
	buffer_load_dword v207, v52, s[20:23], 0 offen offset:64   // 000000006638: E0501040 8005CF34
	v_perm_b32 v34, v213, v211, s54                            // 000000006640: D1ED0022 00DBA7D5
	v_perm_b32 v35, v213, v211, s55                            // 000000006648: D1ED0023 00DFA7D5
	v_perm_b32 v36, v217, v215, s54                            // 000000006650: D1ED0024 00DBAFD9
	v_perm_b32 v37, v217, v215, s55                            // 000000006658: D1ED0025 00DFAFD9
	v_perm_b32 v218, v36, v34, s53                             // 000000006660: D1ED00DA 00D64524
	v_perm_b32 v219, v36, v34, s52                             // 000000006668: D1ED00DB 00D24524
	v_perm_b32 v220, v37, v35, s53                             // 000000006670: D1ED00DC 00D64725
	v_perm_b32 v221, v37, v35, s52                             // 000000006678: D1ED00DD 00D24725
	v_accvgpr_write_b32 a127, v218                             // 000000006680: D3D9407F 180001DA
	v_accvgpr_write_b32 a131, v219                             // 000000006688: D3D94083 180001DB
	v_accvgpr_write_b32 a135, v220                             // 000000006690: D3D94087 180001DC
	v_accvgpr_write_b32 a139, v221                             // 000000006698: D3D9408B 180001DD
	s_waitcnt lgkmcnt(0)                                       // 0000000066A0: BF8CC07F
	v_max3_f32 v8, v58, v59, v8                                // 0000000066A4: D1D30008 0422773A
	v_max3_f32 v8, v60, v61, v8                                // 0000000066AC: D1D30008 04227B3C
	v_max3_f32 v8, v62, v63, v8                                // 0000000066B4: D1D30008 04227F3E
	v_max3_f32 v8, v64, v65, v8                                // 0000000066BC: D1D30008 04228340
	v_max3_f32 v8, v66, v67, v8                                // 0000000066C4: D1D30008 04228742
	v_max3_f32 v8, v68, v69, v8                                // 0000000066CC: D1D30008 04228B44
	v_max3_f32 v8, v70, v71, v8                                // 0000000066D4: D1D30008 04228F46
	v_max3_f32 v8, v72, v73, v8                                // 0000000066DC: D1D30008 04229348
	buffer_load_dword v208, v53, s[20:23], 0 offen             // 0000000066E4: E0501000 8005D035
	buffer_load_dword v209, v53, s[20:23], 0 offen offset:64   // 0000000066EC: E0501040 8005D135
	v_cmp_eq_u32_e64 s[34:35], v11, v13                        // 0000000066F4: D0CA0022 00021B0B
	v_max_f32_e32 v14, v8, v13                                 // 0000000066FC: 161C1B08
	v_sub_f32_e32 v21, v13, v14                                // 000000006700: 042A1D0D
	v_cndmask_b32_e64 v21, v21, 0, s[34:35]                    // 000000006704: D1000015 00890115
	v_mov_b32_e32 v13, v14                                     // 00000000670C: 7E1A030E
	v_mul_f32_e32 v9, s5, v14                                  // 000000006710: 0A121C05
	v_mul_f32_e32 v21, s5, v21                                 // 000000006714: 0A2A2A05
	v_exp_f32_e32 v21, v21                                     // 000000006718: 7E2A4115
	buffer_load_dword v210, v54, s[20:23], 0 offen             // 00000000671C: E0501000 8005D236
	buffer_load_dword v211, v54, s[20:23], 0 offen offset:64   // 000000006724: E0501040 8005D336
	v_fma_f32 v86, v86, s5, -v9                                // 00000000672C: D1CB0056 84240B56
	v_fma_f32 v87, v87, s5, -v9                                // 000000006734: D1CB0057 84240B57
	v_fma_f32 v88, v88, s5, -v9                                // 00000000673C: D1CB0058 84240B58
	v_fma_f32 v89, v89, s5, -v9                                // 000000006744: D1CB0059 84240B59
	v_exp_f32_e32 v86, v86                                     // 00000000674C: 7EAC4156
	v_exp_f32_e32 v87, v87                                     // 000000006750: 7EAE4157
	v_exp_f32_e32 v88, v88                                     // 000000006754: 7EB04158
	v_exp_f32_e32 v89, v89                                     // 000000006758: 7EB24159
	buffer_load_dword v212, v55, s[20:23], 0 offen             // 00000000675C: E0501000 8005D437
	buffer_load_dword v213, v55, s[20:23], 0 offen offset:64   // 000000006764: E0501040 8005D537
	v_mul_f32_e32 v16, v21, v16                                // 00000000676C: 0A202115
	v_mov_b32_e32 v17, v86                                     // 000000006770: 7E220356
	v_add_f32_e32 v17, v87, v17                                // 000000006774: 02222357
	v_add_f32_e32 v17, v88, v17                                // 000000006778: 02222358
	v_add_f32_e32 v17, v89, v17                                // 00000000677C: 02222359
	v_add_f32_e32 v16, v17, v16                                // 000000006780: 02202111
	buffer_load_dword v214, v56, s[20:23], 0 offen             // 000000006784: E0501000 8005D638
	buffer_load_dword v215, v56, s[20:23], 0 offen offset:64   // 00000000678C: E0501040 8005D738
	v_cvt_pk_fp8_f32 v86, v86, v87                             // 000000006794: D2A20056 0002AF56
	v_cvt_pk_fp8_f32 v86, v88, v89 op_sel:[0,0,1]              // 00000000679C: D2A24056 0002B358
	ds_write_b32 v7, v86                                       // 0000000067A4: D81A0000 00005607
	buffer_load_dword v216, v57, s[20:23], 0 offen             // 0000000067AC: E0501000 8005D839
	buffer_load_dword v217, v57, s[20:23], 0 offen offset:64   // 0000000067B4: E0501040 8005D939
	v_mov_b32_e32 v34, v21                                     // 0000000067BC: 7E440315
	v_mov_b32_e32 v35, v21                                     // 0000000067C0: 7E460315
	v_pk_mul_f32 v[122:123], v[34:35], v[122:123]              // 0000000067C4: D3B1407A 1802F522
	v_pk_mul_f32 v[124:125], v[34:35], v[124:125]              // 0000000067CC: D3B1407C 1802F922
	v_pk_mul_f32 v[126:127], v[34:35], v[126:127]              // 0000000067D4: D3B1407E 1802FD22
	v_pk_mul_f32 v[128:129], v[34:35], v[128:129]              // 0000000067DC: D3B14080 18030122
	v_pk_mul_f32 v[130:131], v[34:35], v[130:131]              // 0000000067E4: D3B14082 18030522
	v_pk_mul_f32 v[132:133], v[34:35], v[132:133]              // 0000000067EC: D3B14084 18030922
	v_pk_mul_f32 v[134:135], v[34:35], v[134:135]              // 0000000067F4: D3B14086 18030D22
	v_pk_mul_f32 v[136:137], v[34:35], v[136:137]              // 0000000067FC: D3B14088 18031122
	v_pk_mul_f32 v[138:139], v[34:35], v[138:139]              // 000000006804: D3B1408A 18031522
	v_pk_mul_f32 v[140:141], v[34:35], v[140:141]              // 00000000680C: D3B1408C 18031922
	v_pk_mul_f32 v[142:143], v[34:35], v[142:143]              // 000000006814: D3B1408E 18031D22
	v_pk_mul_f32 v[144:145], v[34:35], v[144:145]              // 00000000681C: D3B14090 18032122
	v_pk_mul_f32 v[146:147], v[34:35], v[146:147]              // 000000006824: D3B14092 18032522
	v_pk_mul_f32 v[148:149], v[34:35], v[148:149]              // 00000000682C: D3B14094 18032922
	v_pk_mul_f32 v[150:151], v[34:35], v[150:151]              // 000000006834: D3B14096 18032D22
	v_pk_mul_f32 v[152:153], v[34:35], v[152:153]              // 00000000683C: D3B14098 18033122
	s_waitcnt lgkmcnt(0)                                       // 000000006844: BF8CC07F
	s_barrier                                                  // 000000006848: BF8A0000
	ds_read_b64 v[86:87], v6                                   // 00000000684C: D8EC0000 56000006
	ds_read_b64 v[88:89], v6 offset:32                         // 000000006854: D8EC0020 58000006
	v_mul_u32_u24_dpp v42, v26, v10 row_newbcast:0 row_mask:0xf bank_mask:0xf// 00000000685C: 105414FA FF01501A
	v_mul_u32_u24_dpp v43, v26, v10 row_newbcast:1 row_mask:0xf bank_mask:0xf// 000000006864: 105614FA FF01511A
	v_mul_u32_u24_dpp v44, v26, v10 row_newbcast:2 row_mask:0xf bank_mask:0xf// 00000000686C: 105814FA FF01521A
	v_mul_u32_u24_dpp v45, v26, v10 row_newbcast:3 row_mask:0xf bank_mask:0xf// 000000006874: 105A14FA FF01531A
	v_mul_u32_u24_dpp v46, v26, v10 row_newbcast:4 row_mask:0xf bank_mask:0xf// 00000000687C: 105C14FA FF01541A
	v_mul_u32_u24_dpp v47, v26, v10 row_newbcast:5 row_mask:0xf bank_mask:0xf// 000000006884: 105E14FA FF01551A
	v_mul_u32_u24_dpp v48, v26, v10 row_newbcast:6 row_mask:0xf bank_mask:0xf// 00000000688C: 106014FA FF01561A
	v_mul_u32_u24_dpp v49, v26, v10 row_newbcast:7 row_mask:0xf bank_mask:0xf// 000000006894: 106214FA FF01571A
	v_mul_u32_u24_dpp v50, v26, v10 row_newbcast:8 row_mask:0xf bank_mask:0xf// 00000000689C: 106414FA FF01581A
	v_mul_u32_u24_dpp v51, v26, v10 row_newbcast:9 row_mask:0xf bank_mask:0xf// 0000000068A4: 106614FA FF01591A
	v_mul_u32_u24_dpp v52, v26, v10 row_newbcast:10 row_mask:0xf bank_mask:0xf// 0000000068AC: 106814FA FF015A1A
	v_mul_u32_u24_dpp v53, v26, v10 row_newbcast:11 row_mask:0xf bank_mask:0xf// 0000000068B4: 106A14FA FF015B1A
	v_mul_u32_u24_dpp v54, v26, v10 row_newbcast:12 row_mask:0xf bank_mask:0xf// 0000000068BC: 106C14FA FF015C1A
	v_mul_u32_u24_dpp v55, v26, v10 row_newbcast:13 row_mask:0xf bank_mask:0xf// 0000000068C4: 106E14FA FF015D1A
	v_mul_u32_u24_dpp v56, v26, v10 row_newbcast:14 row_mask:0xf bank_mask:0xf// 0000000068CC: 107014FA FF015E1A
	v_mul_u32_u24_dpp v57, v26, v10 row_newbcast:15 row_mask:0xf bank_mask:0xf// 0000000068D4: 107214FA FF015F1A
	s_mov_b32 s56, m0                                          // 0000000068DC: BEB8007C
	s_set_gpr_idx_on s51, gpr_idx(SRC0)                        // 0000000068E0: BF110133
	v_add_u32_e32 v38, v42, v3                                 // 0000000068E4: 684C072A
	v_add_u32_e32 v39, v43, v3                                 // 0000000068E8: 684E072B
	v_add_u32_e32 v40, v44, v3                                 // 0000000068EC: 6850072C
	v_add_u32_e32 v41, v45, v3                                 // 0000000068F0: 6852072D
	s_set_gpr_idx_off                                          // 0000000068F4: BF9C0000
	s_mov_b32 m0, s56                                          // 0000000068F8: BEFC0038
	v_add_u32_e32 v42, v42, v2                                 // 0000000068FC: 6854052A
	v_add_u32_e32 v43, v43, v2                                 // 000000006900: 6856052B
	v_add_u32_e32 v44, v44, v2                                 // 000000006904: 6858052C
	v_add_u32_e32 v45, v45, v2                                 // 000000006908: 685A052D
	v_add_u32_e32 v46, v46, v2                                 // 00000000690C: 685C052E
	v_add_u32_e32 v47, v47, v2                                 // 000000006910: 685E052F
	v_add_u32_e32 v48, v48, v2                                 // 000000006914: 68600530
	v_add_u32_e32 v49, v49, v2                                 // 000000006918: 68620531
	v_add_u32_e32 v50, v50, v2                                 // 00000000691C: 68640532
	v_add_u32_e32 v51, v51, v2                                 // 000000006920: 68660533
	v_add_u32_e32 v52, v52, v2                                 // 000000006924: 68680534
	v_add_u32_e32 v53, v53, v2                                 // 000000006928: 686A0535
	v_add_u32_e32 v54, v54, v2                                 // 00000000692C: 686C0536
	v_add_u32_e32 v55, v55, v2                                 // 000000006930: 686E0537
	v_add_u32_e32 v56, v56, v2                                 // 000000006934: 68700538
	v_add_u32_e32 v57, v57, v2                                 // 000000006938: 68720539
	s_waitcnt lgkmcnt(0)                                       // 00000000693C: BF8CC07F
	s_waitcnt vmcnt(37)                                        // 000000006940: BF8C8F75
	v_mfma_f32_16x16x32_fp8_fp8 v[90:93], a[108:109], v[82:83], v[90:93]// 000000006944: D3F3005A 0D6AA56C
	ds_write_b32 v22, v170                                     // 00000000694C: D81A0000 0000AA16
	ds_write_b32 v22, v171 offset:64                           // 000000006954: D81A0040 0000AB16
	v_mfma_f32_16x16x32_fp8_fp8 v[90:93], a[110:111], v[84:85], v[90:93]// 00000000695C: D3F3005A 0D6AA96E
	v_mfma_f32_16x16x32_fp8_fp8 v[94:97], a[112:113], v[82:83], v[94:97]// 000000006964: D3F3005E 0D7AA570
	ds_write_b32 v22, v172 offset:4128                         // 00000000696C: D81A1020 0000AC16
	ds_write_b32 v22, v173 offset:4192                         // 000000006974: D81A1060 0000AD16
	v_mfma_f32_16x16x32_fp8_fp8 v[94:97], a[114:115], v[84:85], v[94:97]// 00000000697C: D3F3005E 0D7AA972
	v_mfma_f32_16x16x32_fp8_fp8 v[98:101], a[116:117], v[82:83], v[98:101]// 000000006984: D3F30062 0D8AA574
	ds_write_b32 v22, v174 offset:8256                         // 00000000698C: D81A2040 0000AE16
	ds_write_b32 v22, v175 offset:8320                         // 000000006994: D81A2080 0000AF16
	v_mfma_f32_16x16x32_fp8_fp8 v[98:101], a[118:119], v[84:85], v[98:101]// 00000000699C: D3F30062 0D8AA976
	v_mfma_f32_16x16x32_fp8_fp8 v[102:105], a[120:121], v[82:83], v[102:105]// 0000000069A4: D3F30066 0D9AA578
	ds_write_b32 v22, v176 offset:12384                        // 0000000069AC: D81A3060 0000B016
	ds_write_b32 v22, v177 offset:12448                        // 0000000069B4: D81A30A0 0000B116
	v_mfma_f32_16x16x32_fp8_fp8 v[102:105], a[122:123], v[84:85], v[102:105]// 0000000069BC: D3F30066 0D9AA97A
	v_mfma_f32_16x16x32_fp8_fp8 v[106:109], a[124:125], v[82:83], v[106:109]// 0000000069C4: D3F3006A 0DAAA57C
	ds_write_b32 v22, v178 offset:512                          // 0000000069CC: D81A0200 0000B216
	ds_write_b32 v22, v179 offset:576                          // 0000000069D4: D81A0240 0000B316
	v_mfma_f32_16x16x32_fp8_fp8 v[106:109], a[126:127], v[84:85], v[106:109]// 0000000069DC: D3F3006A 0DAAA97E
	v_mfma_f32_16x16x32_fp8_fp8 v[110:113], a[128:129], v[82:83], v[110:113]// 0000000069E4: D3F3006E 0DBAA580
	ds_write_b32 v22, v180 offset:4640                         // 0000000069EC: D81A1220 0000B416
	ds_write_b32 v22, v181 offset:4704                         // 0000000069F4: D81A1260 0000B516
	v_mfma_f32_16x16x32_fp8_fp8 v[110:113], a[130:131], v[84:85], v[110:113]// 0000000069FC: D3F3006E 0DBAA982
	v_mfma_f32_16x16x32_fp8_fp8 v[114:117], a[132:133], v[82:83], v[114:117]// 000000006A04: D3F30072 0DCAA584
	ds_write_b32 v22, v182 offset:8768                         // 000000006A0C: D81A2240 0000B616
	ds_write_b32 v22, v183 offset:8832                         // 000000006A14: D81A2280 0000B716
	v_mfma_f32_16x16x32_fp8_fp8 v[114:117], a[134:135], v[84:85], v[114:117]// 000000006A1C: D3F30072 0DCAA986
	v_mfma_f32_16x16x32_fp8_fp8 v[118:121], a[136:137], v[82:83], v[118:121]// 000000006A24: D3F30076 0DDAA588
	ds_write_b32 v22, v184 offset:12896                        // 000000006A2C: D81A3260 0000B816
	ds_write_b32 v22, v185 offset:12960                        // 000000006A34: D81A32A0 0000B916
	v_mfma_f32_16x16x32_fp8_fp8 v[118:121], a[138:139], v[84:85], v[118:121]// 000000006A3C: D3F30076 0DDAA98A
	ds_read_b64 a[104:105], v25 offset:16512                   // 000000006A44: DAEC4080 68000019
	ds_read_b64 a[106:107], v25 offset:16520                   // 000000006A4C: DAEC4088 6A000019
	v_mfma_f32_16x16x32_fp8_fp8 v[122:125], a[108:109], v[86:87], v[122:125]// 000000006A54: D3F3007A 0DEAAD6C
	v_mfma_f32_16x16x32_fp8_fp8 v[122:125], a[110:111], v[88:89], v[122:125]// 000000006A5C: D3F3007A 0DEAB16E
	s_waitcnt lgkmcnt(4)                                       // 000000006A64: BF8CC47F
	s_barrier                                                  // 000000006A68: BF8A0000
	v_mfma_f32_16x16x32_fp8_fp8 v[126:129], a[112:113], v[86:87], v[126:129]// 000000006A6C: D3F3007E 0DFAAD70
	ds_read_b128 a[72:75], v24                                 // 000000006A74: DBFE0000 48000018
	v_mfma_f32_16x16x32_fp8_fp8 v[126:129], a[114:115], v[88:89], v[126:129]// 000000006A7C: D3F3007E 0DFAB172
	ds_read_b128 a[76:79], v24 offset:64                       // 000000006A84: DBFE0040 4C000018
	v_mfma_f32_16x16x32_fp8_fp8 v[130:133], a[116:117], v[86:87], v[130:133]// 000000006A8C: D3F30082 0E0AAD74
	ds_read_b128 a[80:83], v24 offset:128                      // 000000006A94: DBFE0080 50000018
	v_mfma_f32_16x16x32_fp8_fp8 v[130:133], a[118:119], v[88:89], v[130:133]// 000000006A9C: D3F30082 0E0AB176
	ds_read_b128 a[84:87], v24 offset:192                      // 000000006AA4: DBFE00C0 54000018
	v_mfma_f32_16x16x32_fp8_fp8 v[134:137], a[120:121], v[86:87], v[134:137]// 000000006AAC: D3F30086 0E1AAD78
	ds_read_b128 a[88:91], v24 offset:256                      // 000000006AB4: DBFE0100 58000018
	v_mfma_f32_16x16x32_fp8_fp8 v[134:137], a[122:123], v[88:89], v[134:137]// 000000006ABC: D3F30086 0E1AB17A
	ds_read_b128 a[92:95], v24 offset:320                      // 000000006AC4: DBFE0140 5C000018
	v_mfma_f32_16x16x32_fp8_fp8 v[138:141], a[124:125], v[86:87], v[138:141]// 000000006ACC: D3F3008A 0E2AAD7C
	ds_read_b128 a[96:99], v24 offset:384                      // 000000006AD4: DBFE0180 60000018
	v_mfma_f32_16x16x32_fp8_fp8 v[138:141], a[126:127], v[88:89], v[138:141]// 000000006ADC: D3F3008A 0E2AB17E
	ds_read_b128 a[100:103], v24 offset:448                    // 000000006AE4: DBFE01C0 64000018
	v_mfma_f32_16x16x32_fp8_fp8 v[142:145], a[128:129], v[86:87], v[142:145]// 000000006AEC: D3F3008E 0E3AAD80
	v_mfma_f32_16x16x32_fp8_fp8 v[142:145], a[130:131], v[88:89], v[142:145]// 000000006AF4: D3F3008E 0E3AB182
	v_mfma_f32_16x16x32_fp8_fp8 v[146:149], a[132:133], v[86:87], v[146:149]// 000000006AFC: D3F30092 0E4AAD84
	v_mfma_f32_16x16x32_fp8_fp8 v[146:149], a[134:135], v[88:89], v[146:149]// 000000006B04: D3F30092 0E4AB186
	v_mfma_f32_16x16x32_fp8_fp8 v[150:153], a[136:137], v[86:87], v[150:153]// 000000006B0C: D3F30096 0E5AAD88
	v_mfma_f32_16x16x32_fp8_fp8 v[150:153], a[138:139], v[88:89], v[150:153]// 000000006B14: D3F30096 0E5AB18A
	s_addk_i32 s70, 0x1                                        // 000000006B1C: B7460001
	s_cmp_lt_i32 s70, s71                                      // 000000006B20: BF044746
	s_cbranch_scc0 label_0AFB                                  // 000000006B24: BF84F8F1
	s_branch label_0AFE                                        // 000000006B28: BF82F8F3

0000000000006b2c <label_120B>:
	s_cmp_eq_i32 s48, 0                                        // 000000006B2C: BF008030
	s_cbranch_scc1 label_1893                                  // 000000006B30: BF850643

0000000000006b34 <label_120D>:
	s_and_b32 s56, s71, 1                                      // 000000006B34: 86388147
	s_cmp_eq_i32 s56, 1                                        // 000000006B38: BF008138
	s_cbranch_scc1 label_1530                                  // 000000006B3C: BF850320
	s_waitcnt vmcnt(0) expcnt(0) lgkmcnt(0)                    // 000000006B40: BF8C0000
	s_barrier                                                  // 000000006B44: BF8A0000
	v_mfma_f32_16x16x32_fp8_fp8 v[82:85], a[72:73], a[0:1], 0  // 000000006B48: D3F30052 1A020148
	v_mfma_f32_16x16x32_fp8_fp8 v[82:85], a[74:75], a[2:3], v[82:85]// 000000006B50: D3F30052 1D4A054A
	v_mfma_f32_16x16x32_fp8_fp8 v[82:85], a[76:77], a[4:5], v[82:85]// 000000006B58: D3F30052 1D4A094C
	v_mfma_f32_16x16x32_fp8_fp8 v[82:85], a[78:79], a[6:7], v[82:85]// 000000006B60: D3F30052 1D4A0D4E
	v_mfma_f32_16x16x32_fp8_fp8 v[82:85], a[80:81], a[8:9], v[82:85]// 000000006B68: D3F30052 1D4A1150
	v_mfma_f32_16x16x32_fp8_fp8 v[82:85], a[82:83], a[10:11], v[82:85]// 000000006B70: D3F30052 1D4A1552
	v_mfma_f32_16x16x32_fp8_fp8 v[82:85], a[84:85], a[12:13], v[82:85]// 000000006B78: D3F30052 1D4A1954
	v_mfma_f32_16x16x32_fp8_fp8 v[82:85], a[86:87], a[14:15], v[82:85]// 000000006B80: D3F30052 1D4A1D56
	v_mfma_f32_16x16x32_fp8_fp8 v[82:85], a[88:89], a[16:17], v[82:85]// 000000006B88: D3F30052 1D4A2158
	v_mfma_f32_16x16x32_fp8_fp8 v[82:85], a[90:91], a[18:19], v[82:85]// 000000006B90: D3F30052 1D4A255A
	v_mfma_f32_16x16x32_fp8_fp8 v[82:85], a[92:93], a[20:21], v[82:85]// 000000006B98: D3F30052 1D4A295C
	v_mfma_f32_16x16x32_fp8_fp8 v[82:85], a[94:95], a[22:23], v[82:85]// 000000006BA0: D3F30052 1D4A2D5E
	v_mfma_f32_16x16x32_fp8_fp8 v[82:85], a[96:97], a[24:25], v[82:85]// 000000006BA8: D3F30052 1D4A3160
	v_mfma_f32_16x16x32_fp8_fp8 v[82:85], a[98:99], a[26:27], v[82:85]// 000000006BB0: D3F30052 1D4A3562
	v_mfma_f32_16x16x32_fp8_fp8 v[82:85], a[100:101], a[28:29], v[82:85]// 000000006BB8: D3F30052 1D4A3964
	v_mfma_f32_16x16x32_fp8_fp8 v[82:85], a[102:103], a[30:31], v[82:85]// 000000006BC0: D3F30052 1D4A3D66
	v_mfma_f32_16x16x32_fp8_fp8 v[82:85], a[104:105], a[32:33], v[82:85]// 000000006BC8: D3F30052 1D4A4168
	v_mfma_f32_16x16x32_fp8_fp8 v[82:85], a[106:107], a[34:35], v[82:85]// 000000006BD0: D3F30052 1D4A456A
	v_mfma_f32_16x16x32_fp8_fp8 v[86:89], a[72:73], a[36:37], 0// 000000006BD8: D3F30056 1A024948
	v_mfma_f32_16x16x32_fp8_fp8 v[86:89], a[74:75], a[38:39], v[86:89]// 000000006BE0: D3F30056 1D5A4D4A
	v_mfma_f32_16x16x32_fp8_fp8 v[86:89], a[76:77], a[40:41], v[86:89]// 000000006BE8: D3F30056 1D5A514C
	v_mfma_f32_16x16x32_fp8_fp8 v[86:89], a[78:79], a[42:43], v[86:89]// 000000006BF0: D3F30056 1D5A554E
	v_mfma_f32_16x16x32_fp8_fp8 v[86:89], a[80:81], a[44:45], v[86:89]// 000000006BF8: D3F30056 1D5A5950
	v_mfma_f32_16x16x32_fp8_fp8 v[86:89], a[82:83], a[46:47], v[86:89]// 000000006C00: D3F30056 1D5A5D52
	v_mfma_f32_16x16x32_fp8_fp8 v[86:89], a[84:85], a[48:49], v[86:89]// 000000006C08: D3F30056 1D5A6154
	v_mfma_f32_16x16x32_fp8_fp8 v[86:89], a[86:87], a[50:51], v[86:89]// 000000006C10: D3F30056 1D5A6556
	v_mfma_f32_16x16x32_fp8_fp8 v[86:89], a[88:89], a[52:53], v[86:89]// 000000006C18: D3F30056 1D5A6958
	v_mfma_f32_16x16x32_fp8_fp8 v[86:89], a[90:91], a[54:55], v[86:89]// 000000006C20: D3F30056 1D5A6D5A
	v_mfma_f32_16x16x32_fp8_fp8 v[86:89], a[92:93], a[56:57], v[86:89]// 000000006C28: D3F30056 1D5A715C
	v_mfma_f32_16x16x32_fp8_fp8 v[86:89], a[94:95], a[58:59], v[86:89]// 000000006C30: D3F30056 1D5A755E
	v_mfma_f32_16x16x32_fp8_fp8 v[86:89], a[96:97], a[60:61], v[86:89]// 000000006C38: D3F30056 1D5A7960
	v_mfma_f32_16x16x32_fp8_fp8 v[86:89], a[98:99], a[62:63], v[86:89]// 000000006C40: D3F30056 1D5A7D62
	v_mfma_f32_16x16x32_fp8_fp8 v[86:89], a[100:101], a[64:65], v[86:89]// 000000006C48: D3F30056 1D5A8164
	v_mfma_f32_16x16x32_fp8_fp8 v[86:89], a[102:103], a[66:67], v[86:89]// 000000006C50: D3F30056 1D5A8566
	v_mfma_f32_16x16x32_fp8_fp8 v[86:89], a[104:105], a[68:69], v[86:89]// 000000006C58: D3F30056 1D5A8968
	v_mfma_f32_16x16x32_fp8_fp8 v[86:89], a[106:107], a[70:71], v[86:89]// 000000006C60: D3F30056 1D5A8D6A
	s_nop 8                                                    // 000000006C68: BF800008
	s_cmp_le_i32 s83, s82                                      // 000000006C6C: BF055253
	s_cbranch_scc1 label_1280                                  // 000000006C70: BF850023
	s_add_u32 s57, s82, 0                                      // 000000006C74: 80398052
	v_mov_b32_e32 v38, s57                                     // 000000006C78: 7E4C0239
	s_sub_u32 s56, s83, 63                                     // 000000006C7C: 80B8BF53
	s_mul_i32 s57, s7, 16                                      // 000000006C80: 92399007
	v_lshrrev_b32_e32 v47, 4, v0                               // 000000006C84: 205E0084
	v_mul_i32_i24_e32 v47, 4, v47                              // 000000006C88: 0C5E5E84
	v_add_u32_e32 v47, s56, v47                                // 000000006C8C: 685E5E38
	v_add_u32_e32 v47, s57, v47                                // 000000006C90: 685E5E39
	v_add_u32_e32 v48, 1, v47                                  // 000000006C94: 68605E81
	v_add_u32_e32 v49, 2, v47                                  // 000000006C98: 68625E82
	v_add_u32_e32 v50, 3, v47                                  // 000000006C9C: 68645E83
	v_cmp_le_u32_e64 s[34:35], v47, v38                        // 000000006CA0: D0CB0022 00024D2F
	v_add_u32_e32 v47, 64, v47                                 // 000000006CA8: 685E5EC0
	s_nop 0                                                    // 000000006CAC: BF800000
	v_cndmask_b32_e64 v82, v11, v82, s[34:35]                  // 000000006CB0: D1000052 008AA50B
	v_cmp_le_u32_e64 s[34:35], v48, v38                        // 000000006CB8: D0CB0022 00024D30
	v_add_u32_e32 v48, 64, v48                                 // 000000006CC0: 686060C0
	s_nop 0                                                    // 000000006CC4: BF800000
	v_cndmask_b32_e64 v83, v11, v83, s[34:35]                  // 000000006CC8: D1000053 008AA70B
	v_cmp_le_u32_e64 s[34:35], v49, v38                        // 000000006CD0: D0CB0022 00024D31
	v_add_u32_e32 v49, 64, v49                                 // 000000006CD8: 686262C0
	s_nop 0                                                    // 000000006CDC: BF800000
	v_cndmask_b32_e64 v84, v11, v84, s[34:35]                  // 000000006CE0: D1000054 008AA90B
	v_cmp_le_u32_e64 s[34:35], v50, v38                        // 000000006CE8: D0CB0022 00024D32
	v_add_u32_e32 v50, 64, v50                                 // 000000006CF0: 686464C0
	s_nop 0                                                    // 000000006CF4: BF800000
	v_cndmask_b32_e64 v85, v11, v85, s[34:35]                  // 000000006CF8: D1000055 008AAB0B

0000000000006d00 <label_1280>:
	v_mov_b32_e32 v8, v82                                      // 000000006D00: 7E100352
	v_max3_f32 v8, v82, v83, v8                                // 000000006D04: D1D30008 0422A752
	v_max3_f32 v8, v84, v85, v8                                // 000000006D0C: D1D30008 0422AB54
	ds_write_b32 v5, v8 offset:21120                           // 000000006D14: D81A5280 00000805
	v_perm_b32 v34, v156, v154, s54                            // 000000006D1C: D1ED0022 00DB359C
	v_perm_b32 v35, v156, v154, s55                            // 000000006D24: D1ED0023 00DF359C
	v_perm_b32 v36, v160, v158, s54                            // 000000006D2C: D1ED0024 00DB3DA0
	v_perm_b32 v37, v160, v158, s55                            // 000000006D34: D1ED0025 00DF3DA0
	v_perm_b32 v218, v36, v34, s53                             // 000000006D3C: D1ED00DA 00D64524
	v_perm_b32 v219, v36, v34, s52                             // 000000006D44: D1ED00DB 00D24524
	v_perm_b32 v220, v37, v35, s53                             // 000000006D4C: D1ED00DC 00D64725
	v_perm_b32 v221, v37, v35, s52                             // 000000006D54: D1ED00DD 00D24725
	v_accvgpr_write_b32 a108, v218                             // 000000006D5C: D3D9406C 180001DA
	v_accvgpr_write_b32 a112, v219                             // 000000006D64: D3D94070 180001DB
	v_accvgpr_write_b32 a116, v220                             // 000000006D6C: D3D94074 180001DC
	v_accvgpr_write_b32 a120, v221                             // 000000006D74: D3D94078 180001DD
	v_perm_b32 v34, v157, v155, s54                            // 000000006D7C: D1ED0022 00DB379D
	v_perm_b32 v35, v157, v155, s55                            // 000000006D84: D1ED0023 00DF379D
	v_perm_b32 v36, v161, v159, s54                            // 000000006D8C: D1ED0024 00DB3FA1
	v_perm_b32 v37, v161, v159, s55                            // 000000006D94: D1ED0025 00DF3FA1
	v_perm_b32 v218, v36, v34, s53                             // 000000006D9C: D1ED00DA 00D64524
	v_perm_b32 v219, v36, v34, s52                             // 000000006DA4: D1ED00DB 00D24524
	v_perm_b32 v220, v37, v35, s53                             // 000000006DAC: D1ED00DC 00D64725
	v_perm_b32 v221, v37, v35, s52                             // 000000006DB4: D1ED00DD 00D24725
	v_accvgpr_write_b32 a124, v218                             // 000000006DBC: D3D9407C 180001DA
	v_accvgpr_write_b32 a128, v219                             // 000000006DC4: D3D94080 180001DB
	v_accvgpr_write_b32 a132, v220                             // 000000006DCC: D3D94084 180001DC
	v_accvgpr_write_b32 a136, v221                             // 000000006DD4: D3D94088 180001DD
	s_waitcnt lgkmcnt(0)                                       // 000000006DDC: BF8CC07F
	s_barrier                                                  // 000000006DE0: BF8A0000
	v_perm_b32 v34, v164, v162, s54                            // 000000006DE4: D1ED0022 00DB45A4
	v_perm_b32 v35, v164, v162, s55                            // 000000006DEC: D1ED0023 00DF45A4
	v_perm_b32 v36, v168, v166, s54                            // 000000006DF4: D1ED0024 00DB4DA8
	v_perm_b32 v37, v168, v166, s55                            // 000000006DFC: D1ED0025 00DF4DA8
	v_perm_b32 v218, v36, v34, s53                             // 000000006E04: D1ED00DA 00D64524
	v_perm_b32 v219, v36, v34, s52                             // 000000006E0C: D1ED00DB 00D24524
	v_perm_b32 v220, v37, v35, s53                             // 000000006E14: D1ED00DC 00D64725
	v_perm_b32 v221, v37, v35, s52                             // 000000006E1C: D1ED00DD 00D24725
	v_accvgpr_write_b32 a109, v218                             // 000000006E24: D3D9406D 180001DA
	v_accvgpr_write_b32 a113, v219                             // 000000006E2C: D3D94071 180001DB
	v_accvgpr_write_b32 a117, v220                             // 000000006E34: D3D94075 180001DC
	v_accvgpr_write_b32 a121, v221                             // 000000006E3C: D3D94079 180001DD
	ds_read_b32 v58, v4 offset:21120                           // 000000006E44: D86C5280 3A000004
	ds_read_b32 v59, v4 offset:21184                           // 000000006E4C: D86C52C0 3B000004
	ds_read_b32 v60, v4 offset:21248                           // 000000006E54: D86C5300 3C000004
	ds_read_b32 v61, v4 offset:21312                           // 000000006E5C: D86C5340 3D000004
	ds_read_b32 v62, v4 offset:21376                           // 000000006E64: D86C5380 3E000004
	ds_read_b32 v63, v4 offset:21440                           // 000000006E6C: D86C53C0 3F000004
	ds_read_b32 v64, v4 offset:21504                           // 000000006E74: D86C5400 40000004
	ds_read_b32 v65, v4 offset:21568                           // 000000006E7C: D86C5440 41000004
	ds_read_b32 v66, v4 offset:21632                           // 000000006E84: D86C5480 42000004
	ds_read_b32 v67, v4 offset:21696                           // 000000006E8C: D86C54C0 43000004
	ds_read_b32 v68, v4 offset:21760                           // 000000006E94: D86C5500 44000004
	ds_read_b32 v69, v4 offset:21824                           // 000000006E9C: D86C5540 45000004
	ds_read_b32 v70, v4 offset:21888                           // 000000006EA4: D86C5580 46000004
	ds_read_b32 v71, v4 offset:21952                           // 000000006EAC: D86C55C0 47000004
	ds_read_b32 v72, v4 offset:22016                           // 000000006EB4: D86C5600 48000004
	ds_read_b32 v73, v4 offset:22080                           // 000000006EBC: D86C5640 49000004
	v_perm_b32 v34, v165, v163, s54                            // 000000006EC4: D1ED0022 00DB47A5
	v_perm_b32 v35, v165, v163, s55                            // 000000006ECC: D1ED0023 00DF47A5
	v_perm_b32 v36, v169, v167, s54                            // 000000006ED4: D1ED0024 00DB4FA9
	v_perm_b32 v37, v169, v167, s55                            // 000000006EDC: D1ED0025 00DF4FA9
	v_perm_b32 v218, v36, v34, s53                             // 000000006EE4: D1ED00DA 00D64524
	v_perm_b32 v219, v36, v34, s52                             // 000000006EEC: D1ED00DB 00D24524
	v_perm_b32 v220, v37, v35, s53                             // 000000006EF4: D1ED00DC 00D64725
	v_perm_b32 v221, v37, v35, s52                             // 000000006EFC: D1ED00DD 00D24725
	v_accvgpr_write_b32 a125, v218                             // 000000006F04: D3D9407D 180001DA
	v_accvgpr_write_b32 a129, v219                             // 000000006F0C: D3D94081 180001DB
	v_accvgpr_write_b32 a133, v220                             // 000000006F14: D3D94085 180001DC
	v_accvgpr_write_b32 a137, v221                             // 000000006F1C: D3D94089 180001DD
	s_waitcnt lgkmcnt(0)                                       // 000000006F24: BF8CC07F
	v_max3_f32 v8, v58, v59, v8                                // 000000006F28: D1D30008 0422773A
	v_max3_f32 v8, v60, v61, v8                                // 000000006F30: D1D30008 04227B3C
	v_max3_f32 v8, v62, v63, v8                                // 000000006F38: D1D30008 04227F3E
	v_max3_f32 v8, v64, v65, v8                                // 000000006F40: D1D30008 04228340
	v_max3_f32 v8, v66, v67, v8                                // 000000006F48: D1D30008 04228742
	v_max3_f32 v8, v68, v69, v8                                // 000000006F50: D1D30008 04228B44
	v_max3_f32 v8, v70, v71, v8                                // 000000006F58: D1D30008 04228F46
	v_max3_f32 v8, v72, v73, v8                                // 000000006F60: D1D30008 04229348
	v_cmp_eq_u32_e64 s[34:35], v11, v12                        // 000000006F68: D0CA0022 0002190B
	v_max_f32_e32 v14, v8, v12                                 // 000000006F70: 161C1908
	v_sub_f32_e32 v20, v12, v14                                // 000000006F74: 04281D0C
	v_cndmask_b32_e64 v20, v20, 0, s[34:35]                    // 000000006F78: D1000014 00890114
	v_mov_b32_e32 v12, v14                                     // 000000006F80: 7E18030E
	v_mul_f32_e32 v9, s5, v14                                  // 000000006F84: 0A121C05
	v_mul_f32_e32 v20, s5, v20                                 // 000000006F88: 0A282805
	v_exp_f32_e32 v20, v20                                     // 000000006F8C: 7E284114
	s_and_b32 s56, s48, 0xff                                   // 000000006F90: 8638FF30 000000FF
	v_mov_b32_e32 v46, s56                                     // 000000006F98: 7E5C0238
	v_lshrrev_b32_e32 v47, 4, v0                               // 000000006F9C: 205E0084
	v_mul_i32_i24_e32 v47, 4, v47                              // 000000006FA0: 0C5E5E84
	s_mul_i32 s56, s7, 16                                      // 000000006FA4: 92389007
	v_add_u32_e32 v47, s56, v47                                // 000000006FA8: 685E5E38
	v_add_u32_e32 v48, 1, v47                                  // 000000006FAC: 68605E81
	v_add_u32_e32 v49, 2, v47                                  // 000000006FB0: 68625E82
	v_add_u32_e32 v50, 3, v47                                  // 000000006FB4: 68645E83
	v_cmp_lt_u32_e64 s[34:35], v47, v46                        // 000000006FB8: D0C90022 00025D2F
	v_add_u32_e32 v47, 64, v47                                 // 000000006FC0: 685E5EC0
	s_nop 0                                                    // 000000006FC4: BF800000
	v_cndmask_b32_e64 v82, v11, v82, s[34:35]                  // 000000006FC8: D1000052 008AA50B
	v_cmp_lt_u32_e64 s[34:35], v48, v46                        // 000000006FD0: D0C90022 00025D30
	v_add_u32_e32 v48, 64, v48                                 // 000000006FD8: 686060C0
	s_nop 0                                                    // 000000006FDC: BF800000
	v_cndmask_b32_e64 v83, v11, v83, s[34:35]                  // 000000006FE0: D1000053 008AA70B
	v_cmp_lt_u32_e64 s[34:35], v49, v46                        // 000000006FE8: D0C90022 00025D31
	v_add_u32_e32 v49, 64, v49                                 // 000000006FF0: 686262C0
	s_nop 0                                                    // 000000006FF4: BF800000
	v_cndmask_b32_e64 v84, v11, v84, s[34:35]                  // 000000006FF8: D1000054 008AA90B
	v_cmp_lt_u32_e64 s[34:35], v50, v46                        // 000000007000: D0C90022 00025D32
	v_add_u32_e32 v50, 64, v50                                 // 000000007008: 686464C0
	s_nop 0                                                    // 00000000700C: BF800000
	v_cndmask_b32_e64 v85, v11, v85, s[34:35]                  // 000000007010: D1000055 008AAB0B
	v_fma_f32 v82, v82, s5, -v9                                // 000000007018: D1CB0052 84240B52
	v_fma_f32 v83, v83, s5, -v9                                // 000000007020: D1CB0053 84240B53
	v_fma_f32 v84, v84, s5, -v9                                // 000000007028: D1CB0054 84240B54
	v_fma_f32 v85, v85, s5, -v9                                // 000000007030: D1CB0055 84240B55
	v_exp_f32_e32 v82, v82                                     // 000000007038: 7EA44152
	v_exp_f32_e32 v83, v83                                     // 00000000703C: 7EA64153
	v_exp_f32_e32 v84, v84                                     // 000000007040: 7EA84154
	v_exp_f32_e32 v85, v85                                     // 000000007044: 7EAA4155
	v_mul_f32_e32 v15, v20, v15                                // 000000007048: 0A1E1F14
	v_mov_b32_e32 v17, v82                                     // 00000000704C: 7E220352
	v_add_f32_e32 v17, v83, v17                                // 000000007050: 02222353
	v_add_f32_e32 v17, v84, v17                                // 000000007054: 02222354
	;; [unrolled: 1-line block ×3, first 2 shown]
	v_add_f32_e32 v15, v17, v15                                // 00000000705C: 021E1F11
	v_cvt_pk_fp8_f32 v82, v82, v83                             // 000000007060: D2A20052 0002A752
	v_cvt_pk_fp8_f32 v82, v84, v85 op_sel:[0,0,1]              // 000000007068: D2A24052 0002AB54
	ds_write_b32 v7, v82                                       // 000000007070: D81A0000 00005207
	s_waitcnt lgkmcnt(0)                                       // 000000007078: BF8CC07F
	s_barrier                                                  // 00000000707C: BF8A0000
	ds_read_b64 v[82:83], v6                                   // 000000007080: D8EC0000 52000006
	ds_read_b64 v[84:85], v6 offset:32                         // 000000007088: D8EC0020 54000006
	v_mov_b32_e32 v34, v20                                     // 000000007090: 7E440314
	v_mov_b32_e32 v35, v20                                     // 000000007094: 7E460314
	v_pk_mul_f32 v[90:91], v[34:35], v[90:91]                  // 000000007098: D3B1405A 1802B522
	v_pk_mul_f32 v[92:93], v[34:35], v[92:93]                  // 0000000070A0: D3B1405C 1802B922
	v_pk_mul_f32 v[94:95], v[34:35], v[94:95]                  // 0000000070A8: D3B1405E 1802BD22
	v_pk_mul_f32 v[96:97], v[34:35], v[96:97]                  // 0000000070B0: D3B14060 1802C122
	v_pk_mul_f32 v[98:99], v[34:35], v[98:99]                  // 0000000070B8: D3B14062 1802C522
	v_pk_mul_f32 v[100:101], v[34:35], v[100:101]              // 0000000070C0: D3B14064 1802C922
	v_pk_mul_f32 v[102:103], v[34:35], v[102:103]              // 0000000070C8: D3B14066 1802CD22
	v_pk_mul_f32 v[104:105], v[34:35], v[104:105]              // 0000000070D0: D3B14068 1802D122
	v_pk_mul_f32 v[106:107], v[34:35], v[106:107]              // 0000000070D8: D3B1406A 1802D522
	v_pk_mul_f32 v[108:109], v[34:35], v[108:109]              // 0000000070E0: D3B1406C 1802D922
	v_pk_mul_f32 v[110:111], v[34:35], v[110:111]              // 0000000070E8: D3B1406E 1802DD22
	v_pk_mul_f32 v[112:113], v[34:35], v[112:113]              // 0000000070F0: D3B14070 1802E122
	v_pk_mul_f32 v[114:115], v[34:35], v[114:115]              // 0000000070F8: D3B14072 1802E522
	v_pk_mul_f32 v[116:117], v[34:35], v[116:117]              // 000000007100: D3B14074 1802E922
	v_pk_mul_f32 v[118:119], v[34:35], v[118:119]              // 000000007108: D3B14076 1802ED22
	v_pk_mul_f32 v[120:121], v[34:35], v[120:121]              // 000000007110: D3B14078 1802F122
	s_waitcnt lgkmcnt(0)                                       // 000000007118: BF8CC07F
	s_cmp_le_i32 s83, s82                                      // 00000000711C: BF055253
	s_cbranch_scc1 label_13AC                                  // 000000007120: BF850023
	s_add_u32 s57, s82, 1                                      // 000000007124: 80398152
	v_mov_b32_e32 v38, s57                                     // 000000007128: 7E4C0239
	s_sub_u32 s56, s83, 63                                     // 00000000712C: 80B8BF53
	s_mul_i32 s57, s7, 16                                      // 000000007130: 92399007
	v_lshrrev_b32_e32 v47, 4, v0                               // 000000007134: 205E0084
	v_mul_i32_i24_e32 v47, 4, v47                              // 000000007138: 0C5E5E84
	v_add_u32_e32 v47, s56, v47                                // 00000000713C: 685E5E38
	v_add_u32_e32 v47, s57, v47                                // 000000007140: 685E5E39
	v_add_u32_e32 v48, 1, v47                                  // 000000007144: 68605E81
	v_add_u32_e32 v49, 2, v47                                  // 000000007148: 68625E82
	v_add_u32_e32 v50, 3, v47                                  // 00000000714C: 68645E83
	v_cmp_le_u32_e64 s[34:35], v47, v38                        // 000000007150: D0CB0022 00024D2F
	v_add_u32_e32 v47, 64, v47                                 // 000000007158: 685E5EC0
	s_nop 0                                                    // 00000000715C: BF800000
	v_cndmask_b32_e64 v86, v11, v86, s[34:35]                  // 000000007160: D1000056 008AAD0B
	v_cmp_le_u32_e64 s[34:35], v48, v38                        // 000000007168: D0CB0022 00024D30
	v_add_u32_e32 v48, 64, v48                                 // 000000007170: 686060C0
	s_nop 0                                                    // 000000007174: BF800000
	v_cndmask_b32_e64 v87, v11, v87, s[34:35]                  // 000000007178: D1000057 008AAF0B
	v_cmp_le_u32_e64 s[34:35], v49, v38                        // 000000007180: D0CB0022 00024D31
	v_add_u32_e32 v49, 64, v49                                 // 000000007188: 686262C0
	s_nop 0                                                    // 00000000718C: BF800000
	v_cndmask_b32_e64 v88, v11, v88, s[34:35]                  // 000000007190: D1000058 008AB10B
	v_cmp_le_u32_e64 s[34:35], v50, v38                        // 000000007198: D0CB0022 00024D32
	v_add_u32_e32 v50, 64, v50                                 // 0000000071A0: 686464C0
	s_nop 0                                                    // 0000000071A4: BF800000
	v_cndmask_b32_e64 v89, v11, v89, s[34:35]                  // 0000000071A8: D1000059 008AB30B

00000000000071b0 <label_13AC>:
	s_add_u32 s83, s84, s83                                    // 0000000071B0: 80535354
	v_mov_b32_e32 v8, v86                                      // 0000000071B4: 7E100356
	v_max3_f32 v8, v86, v87, v8                                // 0000000071B8: D1D30008 0422AF56
	v_max3_f32 v8, v88, v89, v8                                // 0000000071C0: D1D30008 0422B358
	ds_write_b32 v5, v8 offset:21120                           // 0000000071C8: D81A5280 00000805
	v_perm_b32 v34, v172, v170, s54                            // 0000000071D0: D1ED0022 00DB55AC
	v_perm_b32 v35, v172, v170, s55                            // 0000000071D8: D1ED0023 00DF55AC
	v_perm_b32 v36, v176, v174, s54                            // 0000000071E0: D1ED0024 00DB5DB0
	v_perm_b32 v37, v176, v174, s55                            // 0000000071E8: D1ED0025 00DF5DB0
	v_perm_b32 v218, v36, v34, s53                             // 0000000071F0: D1ED00DA 00D64524
	v_perm_b32 v219, v36, v34, s52                             // 0000000071F8: D1ED00DB 00D24524
	v_perm_b32 v220, v37, v35, s53                             // 000000007200: D1ED00DC 00D64725
	v_perm_b32 v221, v37, v35, s52                             // 000000007208: D1ED00DD 00D24725
	v_accvgpr_write_b32 a110, v218                             // 000000007210: D3D9406E 180001DA
	v_accvgpr_write_b32 a114, v219                             // 000000007218: D3D94072 180001DB
	v_accvgpr_write_b32 a118, v220                             // 000000007220: D3D94076 180001DC
	v_accvgpr_write_b32 a122, v221                             // 000000007228: D3D9407A 180001DD
	v_perm_b32 v34, v173, v171, s54                            // 000000007230: D1ED0022 00DB57AD
	v_perm_b32 v35, v173, v171, s55                            // 000000007238: D1ED0023 00DF57AD
	v_perm_b32 v36, v177, v175, s54                            // 000000007240: D1ED0024 00DB5FB1
	v_perm_b32 v37, v177, v175, s55                            // 000000007248: D1ED0025 00DF5FB1
	v_perm_b32 v218, v36, v34, s53                             // 000000007250: D1ED00DA 00D64524
	v_perm_b32 v219, v36, v34, s52                             // 000000007258: D1ED00DB 00D24524
	v_perm_b32 v220, v37, v35, s53                             // 000000007260: D1ED00DC 00D64725
	v_perm_b32 v221, v37, v35, s52                             // 000000007268: D1ED00DD 00D24725
	v_accvgpr_write_b32 a126, v218                             // 000000007270: D3D9407E 180001DA
	v_accvgpr_write_b32 a130, v219                             // 000000007278: D3D94082 180001DB
	v_accvgpr_write_b32 a134, v220                             // 000000007280: D3D94086 180001DC
	v_accvgpr_write_b32 a138, v221                             // 000000007288: D3D9408A 180001DD
	s_waitcnt lgkmcnt(0)                                       // 000000007290: BF8CC07F
	s_barrier                                                  // 000000007294: BF8A0000
	v_perm_b32 v34, v180, v178, s54                            // 000000007298: D1ED0022 00DB65B4
	v_perm_b32 v35, v180, v178, s55                            // 0000000072A0: D1ED0023 00DF65B4
	v_perm_b32 v36, v184, v182, s54                            // 0000000072A8: D1ED0024 00DB6DB8
	v_perm_b32 v37, v184, v182, s55                            // 0000000072B0: D1ED0025 00DF6DB8
	v_perm_b32 v218, v36, v34, s53                             // 0000000072B8: D1ED00DA 00D64524
	v_perm_b32 v219, v36, v34, s52                             // 0000000072C0: D1ED00DB 00D24524
	v_perm_b32 v220, v37, v35, s53                             // 0000000072C8: D1ED00DC 00D64725
	v_perm_b32 v221, v37, v35, s52                             // 0000000072D0: D1ED00DD 00D24725
	v_accvgpr_write_b32 a111, v218                             // 0000000072D8: D3D9406F 180001DA
	v_accvgpr_write_b32 a115, v219                             // 0000000072E0: D3D94073 180001DB
	v_accvgpr_write_b32 a119, v220                             // 0000000072E8: D3D94077 180001DC
	v_accvgpr_write_b32 a123, v221                             // 0000000072F0: D3D9407B 180001DD
	ds_read_b32 v58, v4 offset:21120                           // 0000000072F8: D86C5280 3A000004
	ds_read_b32 v59, v4 offset:21184                           // 000000007300: D86C52C0 3B000004
	ds_read_b32 v60, v4 offset:21248                           // 000000007308: D86C5300 3C000004
	ds_read_b32 v61, v4 offset:21312                           // 000000007310: D86C5340 3D000004
	ds_read_b32 v62, v4 offset:21376                           // 000000007318: D86C5380 3E000004
	ds_read_b32 v63, v4 offset:21440                           // 000000007320: D86C53C0 3F000004
	ds_read_b32 v64, v4 offset:21504                           // 000000007328: D86C5400 40000004
	ds_read_b32 v65, v4 offset:21568                           // 000000007330: D86C5440 41000004
	ds_read_b32 v66, v4 offset:21632                           // 000000007338: D86C5480 42000004
	ds_read_b32 v67, v4 offset:21696                           // 000000007340: D86C54C0 43000004
	ds_read_b32 v68, v4 offset:21760                           // 000000007348: D86C5500 44000004
	ds_read_b32 v69, v4 offset:21824                           // 000000007350: D86C5540 45000004
	ds_read_b32 v70, v4 offset:21888                           // 000000007358: D86C5580 46000004
	ds_read_b32 v71, v4 offset:21952                           // 000000007360: D86C55C0 47000004
	ds_read_b32 v72, v4 offset:22016                           // 000000007368: D86C5600 48000004
	ds_read_b32 v73, v4 offset:22080                           // 000000007370: D86C5640 49000004
	v_perm_b32 v34, v181, v179, s54                            // 000000007378: D1ED0022 00DB67B5
	v_perm_b32 v35, v181, v179, s55                            // 000000007380: D1ED0023 00DF67B5
	v_perm_b32 v36, v185, v183, s54                            // 000000007388: D1ED0024 00DB6FB9
	v_perm_b32 v37, v185, v183, s55                            // 000000007390: D1ED0025 00DF6FB9
	v_perm_b32 v218, v36, v34, s53                             // 000000007398: D1ED00DA 00D64524
	v_perm_b32 v219, v36, v34, s52                             // 0000000073A0: D1ED00DB 00D24524
	v_perm_b32 v220, v37, v35, s53                             // 0000000073A8: D1ED00DC 00D64725
	v_perm_b32 v221, v37, v35, s52                             // 0000000073B0: D1ED00DD 00D24725
	v_accvgpr_write_b32 a127, v218                             // 0000000073B8: D3D9407F 180001DA
	v_accvgpr_write_b32 a131, v219                             // 0000000073C0: D3D94083 180001DB
	v_accvgpr_write_b32 a135, v220                             // 0000000073C8: D3D94087 180001DC
	v_accvgpr_write_b32 a139, v221                             // 0000000073D0: D3D9408B 180001DD
	s_waitcnt lgkmcnt(0)                                       // 0000000073D8: BF8CC07F
	v_max3_f32 v8, v58, v59, v8                                // 0000000073DC: D1D30008 0422773A
	v_max3_f32 v8, v60, v61, v8                                // 0000000073E4: D1D30008 04227B3C
	v_max3_f32 v8, v62, v63, v8                                // 0000000073EC: D1D30008 04227F3E
	v_max3_f32 v8, v64, v65, v8                                // 0000000073F4: D1D30008 04228340
	v_max3_f32 v8, v66, v67, v8                                // 0000000073FC: D1D30008 04228742
	v_max3_f32 v8, v68, v69, v8                                // 000000007404: D1D30008 04228B44
	v_max3_f32 v8, v70, v71, v8                                // 00000000740C: D1D30008 04228F46
	v_max3_f32 v8, v72, v73, v8                                // 000000007414: D1D30008 04229348
	v_cmp_eq_u32_e64 s[34:35], v11, v13                        // 00000000741C: D0CA0022 00021B0B
	v_max_f32_e32 v14, v8, v13                                 // 000000007424: 161C1B08
	v_sub_f32_e32 v21, v13, v14                                // 000000007428: 042A1D0D
	v_cndmask_b32_e64 v21, v21, 0, s[34:35]                    // 00000000742C: D1000015 00890115
	v_mov_b32_e32 v13, v14                                     // 000000007434: 7E1A030E
	v_mul_f32_e32 v9, s5, v14                                  // 000000007438: 0A121C05
	v_mul_f32_e32 v21, s5, v21                                 // 00000000743C: 0A2A2A05
	v_exp_f32_e32 v21, v21                                     // 000000007440: 7E2A4115
	s_and_b32 s56, s48, 0xff                                   // 000000007444: 8638FF30 000000FF
	v_mov_b32_e32 v46, s56                                     // 00000000744C: 7E5C0238
	v_lshrrev_b32_e32 v47, 4, v0                               // 000000007450: 205E0084
	v_mul_i32_i24_e32 v47, 4, v47                              // 000000007454: 0C5E5E84
	s_mul_i32 s56, s7, 16                                      // 000000007458: 92389007
	v_add_u32_e32 v47, s56, v47                                // 00000000745C: 685E5E38
	v_add_u32_e32 v48, 1, v47                                  // 000000007460: 68605E81
	v_add_u32_e32 v49, 2, v47                                  // 000000007464: 68625E82
	v_add_u32_e32 v50, 3, v47                                  // 000000007468: 68645E83
	v_cmp_lt_u32_e64 s[34:35], v47, v46                        // 00000000746C: D0C90022 00025D2F
	v_add_u32_e32 v47, 64, v47                                 // 000000007474: 685E5EC0
	s_nop 0                                                    // 000000007478: BF800000
	v_cndmask_b32_e64 v86, v11, v86, s[34:35]                  // 00000000747C: D1000056 008AAD0B
	v_cmp_lt_u32_e64 s[34:35], v48, v46                        // 000000007484: D0C90022 00025D30
	v_add_u32_e32 v48, 64, v48                                 // 00000000748C: 686060C0
	s_nop 0                                                    // 000000007490: BF800000
	v_cndmask_b32_e64 v87, v11, v87, s[34:35]                  // 000000007494: D1000057 008AAF0B
	v_cmp_lt_u32_e64 s[34:35], v49, v46                        // 00000000749C: D0C90022 00025D31
	v_add_u32_e32 v49, 64, v49                                 // 0000000074A4: 686262C0
	s_nop 0                                                    // 0000000074A8: BF800000
	v_cndmask_b32_e64 v88, v11, v88, s[34:35]                  // 0000000074AC: D1000058 008AB10B
	v_cmp_lt_u32_e64 s[34:35], v50, v46                        // 0000000074B4: D0C90022 00025D32
	v_add_u32_e32 v50, 64, v50                                 // 0000000074BC: 686464C0
	s_nop 0                                                    // 0000000074C0: BF800000
	v_cndmask_b32_e64 v89, v11, v89, s[34:35]                  // 0000000074C4: D1000059 008AB30B
	v_fma_f32 v86, v86, s5, -v9                                // 0000000074CC: D1CB0056 84240B56
	v_fma_f32 v87, v87, s5, -v9                                // 0000000074D4: D1CB0057 84240B57
	v_fma_f32 v88, v88, s5, -v9                                // 0000000074DC: D1CB0058 84240B58
	v_fma_f32 v89, v89, s5, -v9                                // 0000000074E4: D1CB0059 84240B59
	v_exp_f32_e32 v86, v86                                     // 0000000074EC: 7EAC4156
	v_exp_f32_e32 v87, v87                                     // 0000000074F0: 7EAE4157
	v_exp_f32_e32 v88, v88                                     // 0000000074F4: 7EB04158
	v_exp_f32_e32 v89, v89                                     // 0000000074F8: 7EB24159
	v_mul_f32_e32 v16, v21, v16                                // 0000000074FC: 0A202115
	v_mov_b32_e32 v17, v86                                     // 000000007500: 7E220356
	v_add_f32_e32 v17, v87, v17                                // 000000007504: 02222357
	v_add_f32_e32 v17, v88, v17                                // 000000007508: 02222358
	v_add_f32_e32 v17, v89, v17                                // 00000000750C: 02222359
	v_add_f32_e32 v16, v17, v16                                // 000000007510: 02202111
	v_cvt_pk_fp8_f32 v86, v86, v87                             // 000000007514: D2A20056 0002AF56
	v_cvt_pk_fp8_f32 v86, v88, v89 op_sel:[0,0,1]              // 00000000751C: D2A24056 0002B358
	ds_write_b32 v7, v86                                       // 000000007524: D81A0000 00005607
	v_mov_b32_e32 v34, v21                                     // 00000000752C: 7E440315
	v_mov_b32_e32 v35, v21                                     // 000000007530: 7E460315
	v_pk_mul_f32 v[122:123], v[34:35], v[122:123]              // 000000007534: D3B1407A 1802F522
	v_pk_mul_f32 v[124:125], v[34:35], v[124:125]              // 00000000753C: D3B1407C 1802F922
	v_pk_mul_f32 v[126:127], v[34:35], v[126:127]              // 000000007544: D3B1407E 1802FD22
	v_pk_mul_f32 v[128:129], v[34:35], v[128:129]              // 00000000754C: D3B14080 18030122
	v_pk_mul_f32 v[130:131], v[34:35], v[130:131]              // 000000007554: D3B14082 18030522
	v_pk_mul_f32 v[132:133], v[34:35], v[132:133]              // 00000000755C: D3B14084 18030922
	v_pk_mul_f32 v[134:135], v[34:35], v[134:135]              // 000000007564: D3B14086 18030D22
	v_pk_mul_f32 v[136:137], v[34:35], v[136:137]              // 00000000756C: D3B14088 18031122
	v_pk_mul_f32 v[138:139], v[34:35], v[138:139]              // 000000007574: D3B1408A 18031522
	v_pk_mul_f32 v[140:141], v[34:35], v[140:141]              // 00000000757C: D3B1408C 18031922
	v_pk_mul_f32 v[142:143], v[34:35], v[142:143]              // 000000007584: D3B1408E 18031D22
	v_pk_mul_f32 v[144:145], v[34:35], v[144:145]              // 00000000758C: D3B14090 18032122
	v_pk_mul_f32 v[146:147], v[34:35], v[146:147]              // 000000007594: D3B14092 18032522
	v_pk_mul_f32 v[148:149], v[34:35], v[148:149]              // 00000000759C: D3B14094 18032922
	v_pk_mul_f32 v[150:151], v[34:35], v[150:151]              // 0000000075A4: D3B14096 18032D22
	v_pk_mul_f32 v[152:153], v[34:35], v[152:153]              // 0000000075AC: D3B14098 18033122
	s_waitcnt lgkmcnt(0)                                       // 0000000075B4: BF8CC07F
	s_barrier                                                  // 0000000075B8: BF8A0000
	ds_read_b64 v[86:87], v6                                   // 0000000075BC: D8EC0000 56000006
	ds_read_b64 v[88:89], v6 offset:32                         // 0000000075C4: D8EC0020 58000006
	v_mul_u32_u24_dpp v42, v27, v10 row_newbcast:0 row_mask:0xf bank_mask:0xf// 0000000075CC: 105414FA FF01501B
	v_mul_u32_u24_dpp v43, v27, v10 row_newbcast:1 row_mask:0xf bank_mask:0xf// 0000000075D4: 105614FA FF01511B
	v_mul_u32_u24_dpp v44, v27, v10 row_newbcast:2 row_mask:0xf bank_mask:0xf// 0000000075DC: 105814FA FF01521B
	v_mul_u32_u24_dpp v45, v27, v10 row_newbcast:3 row_mask:0xf bank_mask:0xf// 0000000075E4: 105A14FA FF01531B
	v_mul_u32_u24_dpp v46, v27, v10 row_newbcast:4 row_mask:0xf bank_mask:0xf// 0000000075EC: 105C14FA FF01541B
	v_mul_u32_u24_dpp v47, v27, v10 row_newbcast:5 row_mask:0xf bank_mask:0xf// 0000000075F4: 105E14FA FF01551B
	v_mul_u32_u24_dpp v48, v27, v10 row_newbcast:6 row_mask:0xf bank_mask:0xf// 0000000075FC: 106014FA FF01561B
	v_mul_u32_u24_dpp v49, v27, v10 row_newbcast:7 row_mask:0xf bank_mask:0xf// 000000007604: 106214FA FF01571B
	v_mul_u32_u24_dpp v50, v27, v10 row_newbcast:8 row_mask:0xf bank_mask:0xf// 00000000760C: 106414FA FF01581B
	v_mul_u32_u24_dpp v51, v27, v10 row_newbcast:9 row_mask:0xf bank_mask:0xf// 000000007614: 106614FA FF01591B
	v_mul_u32_u24_dpp v52, v27, v10 row_newbcast:10 row_mask:0xf bank_mask:0xf// 00000000761C: 106814FA FF015A1B
	v_mul_u32_u24_dpp v53, v27, v10 row_newbcast:11 row_mask:0xf bank_mask:0xf// 000000007624: 106A14FA FF015B1B
	v_mul_u32_u24_dpp v54, v27, v10 row_newbcast:12 row_mask:0xf bank_mask:0xf// 00000000762C: 106C14FA FF015C1B
	v_mul_u32_u24_dpp v55, v27, v10 row_newbcast:13 row_mask:0xf bank_mask:0xf// 000000007634: 106E14FA FF015D1B
	v_mul_u32_u24_dpp v56, v27, v10 row_newbcast:14 row_mask:0xf bank_mask:0xf// 00000000763C: 107014FA FF015E1B
	v_mul_u32_u24_dpp v57, v27, v10 row_newbcast:15 row_mask:0xf bank_mask:0xf// 000000007644: 107214FA FF015F1B
	s_mov_b32 s56, m0                                          // 00000000764C: BEB8007C
	s_set_gpr_idx_on s51, gpr_idx(SRC0)                        // 000000007650: BF110133
	v_add_u32_e32 v38, v42, v3                                 // 000000007654: 684C072A
	v_add_u32_e32 v39, v43, v3                                 // 000000007658: 684E072B
	v_add_u32_e32 v40, v44, v3                                 // 00000000765C: 6850072C
	v_add_u32_e32 v41, v45, v3                                 // 000000007660: 6852072D
	s_set_gpr_idx_off                                          // 000000007664: BF9C0000
	s_mov_b32 m0, s56                                          // 000000007668: BEFC0038
	v_add_u32_e32 v42, v42, v2                                 // 00000000766C: 6854052A
	v_add_u32_e32 v43, v43, v2                                 // 000000007670: 6856052B
	v_add_u32_e32 v44, v44, v2                                 // 000000007674: 6858052C
	v_add_u32_e32 v45, v45, v2                                 // 000000007678: 685A052D
	v_add_u32_e32 v46, v46, v2                                 // 00000000767C: 685C052E
	v_add_u32_e32 v47, v47, v2                                 // 000000007680: 685E052F
	v_add_u32_e32 v48, v48, v2                                 // 000000007684: 68600530
	v_add_u32_e32 v49, v49, v2                                 // 000000007688: 68620531
	v_add_u32_e32 v50, v50, v2                                 // 00000000768C: 68640532
	v_add_u32_e32 v51, v51, v2                                 // 000000007690: 68660533
	v_add_u32_e32 v52, v52, v2                                 // 000000007694: 68680534
	v_add_u32_e32 v53, v53, v2                                 // 000000007698: 686A0535
	v_add_u32_e32 v54, v54, v2                                 // 00000000769C: 686C0536
	v_add_u32_e32 v55, v55, v2                                 // 0000000076A0: 686E0537
	v_add_u32_e32 v56, v56, v2                                 // 0000000076A4: 68700538
	v_add_u32_e32 v57, v57, v2                                 // 0000000076A8: 68720539
	s_waitcnt lgkmcnt(0)                                       // 0000000076AC: BF8CC07F
	s_waitcnt vmcnt(0)                                         // 0000000076B0: BF8C0F70
	s_barrier                                                  // 0000000076B4: BF8A0000
	v_mfma_f32_16x16x32_fp8_fp8 v[90:93], a[108:109], v[82:83], v[90:93]// 0000000076B8: D3F3005A 0D6AA56C
	v_mfma_f32_16x16x32_fp8_fp8 v[90:93], a[110:111], v[84:85], v[90:93]// 0000000076C0: D3F3005A 0D6AA96E
	v_mfma_f32_16x16x32_fp8_fp8 v[94:97], a[112:113], v[82:83], v[94:97]// 0000000076C8: D3F3005E 0D7AA570
	v_mfma_f32_16x16x32_fp8_fp8 v[94:97], a[114:115], v[84:85], v[94:97]// 0000000076D0: D3F3005E 0D7AA972
	v_mfma_f32_16x16x32_fp8_fp8 v[98:101], a[116:117], v[82:83], v[98:101]// 0000000076D8: D3F30062 0D8AA574
	v_mfma_f32_16x16x32_fp8_fp8 v[98:101], a[118:119], v[84:85], v[98:101]// 0000000076E0: D3F30062 0D8AA976
	v_mfma_f32_16x16x32_fp8_fp8 v[102:105], a[120:121], v[82:83], v[102:105]// 0000000076E8: D3F30066 0D9AA578
	v_mfma_f32_16x16x32_fp8_fp8 v[102:105], a[122:123], v[84:85], v[102:105]// 0000000076F0: D3F30066 0D9AA97A
	v_mfma_f32_16x16x32_fp8_fp8 v[106:109], a[124:125], v[82:83], v[106:109]// 0000000076F8: D3F3006A 0DAAA57C
	v_mfma_f32_16x16x32_fp8_fp8 v[106:109], a[126:127], v[84:85], v[106:109]// 000000007700: D3F3006A 0DAAA97E
	v_mfma_f32_16x16x32_fp8_fp8 v[110:113], a[128:129], v[82:83], v[110:113]// 000000007708: D3F3006E 0DBAA580
	v_mfma_f32_16x16x32_fp8_fp8 v[110:113], a[130:131], v[84:85], v[110:113]// 000000007710: D3F3006E 0DBAA982
	v_mfma_f32_16x16x32_fp8_fp8 v[114:117], a[132:133], v[82:83], v[114:117]// 000000007718: D3F30072 0DCAA584
	v_mfma_f32_16x16x32_fp8_fp8 v[114:117], a[134:135], v[84:85], v[114:117]// 000000007720: D3F30072 0DCAA986
	v_mfma_f32_16x16x32_fp8_fp8 v[118:121], a[136:137], v[82:83], v[118:121]// 000000007728: D3F30076 0DDAA588
	v_mfma_f32_16x16x32_fp8_fp8 v[118:121], a[138:139], v[84:85], v[118:121]// 000000007730: D3F30076 0DDAA98A
	v_mfma_f32_16x16x32_fp8_fp8 v[122:125], a[108:109], v[86:87], v[122:125]// 000000007738: D3F3007A 0DEAAD6C
	v_mfma_f32_16x16x32_fp8_fp8 v[122:125], a[110:111], v[88:89], v[122:125]// 000000007740: D3F3007A 0DEAB16E
	v_mfma_f32_16x16x32_fp8_fp8 v[126:129], a[112:113], v[86:87], v[126:129]// 000000007748: D3F3007E 0DFAAD70
	v_mfma_f32_16x16x32_fp8_fp8 v[126:129], a[114:115], v[88:89], v[126:129]// 000000007750: D3F3007E 0DFAB172
	v_mfma_f32_16x16x32_fp8_fp8 v[130:133], a[116:117], v[86:87], v[130:133]// 000000007758: D3F30082 0E0AAD74
	v_mfma_f32_16x16x32_fp8_fp8 v[130:133], a[118:119], v[88:89], v[130:133]// 000000007760: D3F30082 0E0AB176
	v_mfma_f32_16x16x32_fp8_fp8 v[134:137], a[120:121], v[86:87], v[134:137]// 000000007768: D3F30086 0E1AAD78
	v_mfma_f32_16x16x32_fp8_fp8 v[134:137], a[122:123], v[88:89], v[134:137]// 000000007770: D3F30086 0E1AB17A
	v_mfma_f32_16x16x32_fp8_fp8 v[138:141], a[124:125], v[86:87], v[138:141]// 000000007778: D3F3008A 0E2AAD7C
	v_mfma_f32_16x16x32_fp8_fp8 v[138:141], a[126:127], v[88:89], v[138:141]// 000000007780: D3F3008A 0E2AB17E
	v_mfma_f32_16x16x32_fp8_fp8 v[142:145], a[128:129], v[86:87], v[142:145]// 000000007788: D3F3008E 0E3AAD80
	v_mfma_f32_16x16x32_fp8_fp8 v[142:145], a[130:131], v[88:89], v[142:145]// 000000007790: D3F3008E 0E3AB182
	v_mfma_f32_16x16x32_fp8_fp8 v[146:149], a[132:133], v[86:87], v[146:149]// 000000007798: D3F30092 0E4AAD84
	v_mfma_f32_16x16x32_fp8_fp8 v[146:149], a[134:135], v[88:89], v[146:149]// 0000000077A0: D3F30092 0E4AB186
	v_mfma_f32_16x16x32_fp8_fp8 v[150:153], a[136:137], v[86:87], v[150:153]// 0000000077A8: D3F30096 0E5AAD88
	v_mfma_f32_16x16x32_fp8_fp8 v[150:153], a[138:139], v[88:89], v[150:153]// 0000000077B0: D3F30096 0E5AB18A
	s_nop 8                                                    // 0000000077B8: BF800008
	s_branch label_1893                                        // 0000000077BC: BF820320

00000000000077c0 <label_1530>:
	s_waitcnt vmcnt(0) expcnt(0) lgkmcnt(0)                    // 0000000077C0: BF8C0000
	s_barrier                                                  // 0000000077C4: BF8A0000
	v_mfma_f32_16x16x32_fp8_fp8 v[82:85], a[72:73], a[0:1], 0  // 0000000077C8: D3F30052 1A020148
	v_mfma_f32_16x16x32_fp8_fp8 v[82:85], a[74:75], a[2:3], v[82:85]// 0000000077D0: D3F30052 1D4A054A
	v_mfma_f32_16x16x32_fp8_fp8 v[82:85], a[76:77], a[4:5], v[82:85]// 0000000077D8: D3F30052 1D4A094C
	v_mfma_f32_16x16x32_fp8_fp8 v[82:85], a[78:79], a[6:7], v[82:85]// 0000000077E0: D3F30052 1D4A0D4E
	v_mfma_f32_16x16x32_fp8_fp8 v[82:85], a[80:81], a[8:9], v[82:85]// 0000000077E8: D3F30052 1D4A1150
	v_mfma_f32_16x16x32_fp8_fp8 v[82:85], a[82:83], a[10:11], v[82:85]// 0000000077F0: D3F30052 1D4A1552
	v_mfma_f32_16x16x32_fp8_fp8 v[82:85], a[84:85], a[12:13], v[82:85]// 0000000077F8: D3F30052 1D4A1954
	v_mfma_f32_16x16x32_fp8_fp8 v[82:85], a[86:87], a[14:15], v[82:85]// 000000007800: D3F30052 1D4A1D56
	v_mfma_f32_16x16x32_fp8_fp8 v[82:85], a[88:89], a[16:17], v[82:85]// 000000007808: D3F30052 1D4A2158
	v_mfma_f32_16x16x32_fp8_fp8 v[82:85], a[90:91], a[18:19], v[82:85]// 000000007810: D3F30052 1D4A255A
	v_mfma_f32_16x16x32_fp8_fp8 v[82:85], a[92:93], a[20:21], v[82:85]// 000000007818: D3F30052 1D4A295C
	v_mfma_f32_16x16x32_fp8_fp8 v[82:85], a[94:95], a[22:23], v[82:85]// 000000007820: D3F30052 1D4A2D5E
	v_mfma_f32_16x16x32_fp8_fp8 v[82:85], a[96:97], a[24:25], v[82:85]// 000000007828: D3F30052 1D4A3160
	v_mfma_f32_16x16x32_fp8_fp8 v[82:85], a[98:99], a[26:27], v[82:85]// 000000007830: D3F30052 1D4A3562
	v_mfma_f32_16x16x32_fp8_fp8 v[82:85], a[100:101], a[28:29], v[82:85]// 000000007838: D3F30052 1D4A3964
	v_mfma_f32_16x16x32_fp8_fp8 v[82:85], a[102:103], a[30:31], v[82:85]// 000000007840: D3F30052 1D4A3D66
	v_mfma_f32_16x16x32_fp8_fp8 v[82:85], a[104:105], a[32:33], v[82:85]// 000000007848: D3F30052 1D4A4168
	v_mfma_f32_16x16x32_fp8_fp8 v[82:85], a[106:107], a[34:35], v[82:85]// 000000007850: D3F30052 1D4A456A
	v_mfma_f32_16x16x32_fp8_fp8 v[86:89], a[72:73], a[36:37], 0// 000000007858: D3F30056 1A024948
	v_mfma_f32_16x16x32_fp8_fp8 v[86:89], a[74:75], a[38:39], v[86:89]// 000000007860: D3F30056 1D5A4D4A
	v_mfma_f32_16x16x32_fp8_fp8 v[86:89], a[76:77], a[40:41], v[86:89]// 000000007868: D3F30056 1D5A514C
	v_mfma_f32_16x16x32_fp8_fp8 v[86:89], a[78:79], a[42:43], v[86:89]// 000000007870: D3F30056 1D5A554E
	v_mfma_f32_16x16x32_fp8_fp8 v[86:89], a[80:81], a[44:45], v[86:89]// 000000007878: D3F30056 1D5A5950
	v_mfma_f32_16x16x32_fp8_fp8 v[86:89], a[82:83], a[46:47], v[86:89]// 000000007880: D3F30056 1D5A5D52
	v_mfma_f32_16x16x32_fp8_fp8 v[86:89], a[84:85], a[48:49], v[86:89]// 000000007888: D3F30056 1D5A6154
	v_mfma_f32_16x16x32_fp8_fp8 v[86:89], a[86:87], a[50:51], v[86:89]// 000000007890: D3F30056 1D5A6556
	v_mfma_f32_16x16x32_fp8_fp8 v[86:89], a[88:89], a[52:53], v[86:89]// 000000007898: D3F30056 1D5A6958
	v_mfma_f32_16x16x32_fp8_fp8 v[86:89], a[90:91], a[54:55], v[86:89]// 0000000078A0: D3F30056 1D5A6D5A
	v_mfma_f32_16x16x32_fp8_fp8 v[86:89], a[92:93], a[56:57], v[86:89]// 0000000078A8: D3F30056 1D5A715C
	v_mfma_f32_16x16x32_fp8_fp8 v[86:89], a[94:95], a[58:59], v[86:89]// 0000000078B0: D3F30056 1D5A755E
	v_mfma_f32_16x16x32_fp8_fp8 v[86:89], a[96:97], a[60:61], v[86:89]// 0000000078B8: D3F30056 1D5A7960
	v_mfma_f32_16x16x32_fp8_fp8 v[86:89], a[98:99], a[62:63], v[86:89]// 0000000078C0: D3F30056 1D5A7D62
	v_mfma_f32_16x16x32_fp8_fp8 v[86:89], a[100:101], a[64:65], v[86:89]// 0000000078C8: D3F30056 1D5A8164
	v_mfma_f32_16x16x32_fp8_fp8 v[86:89], a[102:103], a[66:67], v[86:89]// 0000000078D0: D3F30056 1D5A8566
	v_mfma_f32_16x16x32_fp8_fp8 v[86:89], a[104:105], a[68:69], v[86:89]// 0000000078D8: D3F30056 1D5A8968
	v_mfma_f32_16x16x32_fp8_fp8 v[86:89], a[106:107], a[70:71], v[86:89]// 0000000078E0: D3F30056 1D5A8D6A
	s_nop 8                                                    // 0000000078E8: BF800008
	s_cmp_le_i32 s83, s82                                      // 0000000078EC: BF055253
	s_cbranch_scc1 label_15A0                                  // 0000000078F0: BF850023
	s_add_u32 s57, s82, 0                                      // 0000000078F4: 80398052
	v_mov_b32_e32 v38, s57                                     // 0000000078F8: 7E4C0239
	s_sub_u32 s56, s83, 63                                     // 0000000078FC: 80B8BF53
	s_mul_i32 s57, s7, 16                                      // 000000007900: 92399007
	v_lshrrev_b32_e32 v47, 4, v0                               // 000000007904: 205E0084
	v_mul_i32_i24_e32 v47, 4, v47                              // 000000007908: 0C5E5E84
	v_add_u32_e32 v47, s56, v47                                // 00000000790C: 685E5E38
	v_add_u32_e32 v47, s57, v47                                // 000000007910: 685E5E39
	v_add_u32_e32 v48, 1, v47                                  // 000000007914: 68605E81
	v_add_u32_e32 v49, 2, v47                                  // 000000007918: 68625E82
	v_add_u32_e32 v50, 3, v47                                  // 00000000791C: 68645E83
	v_cmp_le_u32_e64 s[34:35], v47, v38                        // 000000007920: D0CB0022 00024D2F
	v_add_u32_e32 v47, 64, v47                                 // 000000007928: 685E5EC0
	s_nop 0                                                    // 00000000792C: BF800000
	v_cndmask_b32_e64 v82, v11, v82, s[34:35]                  // 000000007930: D1000052 008AA50B
	v_cmp_le_u32_e64 s[34:35], v48, v38                        // 000000007938: D0CB0022 00024D30
	v_add_u32_e32 v48, 64, v48                                 // 000000007940: 686060C0
	s_nop 0                                                    // 000000007944: BF800000
	v_cndmask_b32_e64 v83, v11, v83, s[34:35]                  // 000000007948: D1000053 008AA70B
	v_cmp_le_u32_e64 s[34:35], v49, v38                        // 000000007950: D0CB0022 00024D31
	v_add_u32_e32 v49, 64, v49                                 // 000000007958: 686262C0
	s_nop 0                                                    // 00000000795C: BF800000
	v_cndmask_b32_e64 v84, v11, v84, s[34:35]                  // 000000007960: D1000054 008AA90B
	v_cmp_le_u32_e64 s[34:35], v50, v38                        // 000000007968: D0CB0022 00024D32
	v_add_u32_e32 v50, 64, v50                                 // 000000007970: 686464C0
	s_nop 0                                                    // 000000007974: BF800000
	v_cndmask_b32_e64 v85, v11, v85, s[34:35]                  // 000000007978: D1000055 008AAB0B

0000000000007980 <label_15A0>:
	v_mov_b32_e32 v8, v82                                      // 000000007980: 7E100352
	v_max3_f32 v8, v82, v83, v8                                // 000000007984: D1D30008 0422A752
	v_max3_f32 v8, v84, v85, v8                                // 00000000798C: D1D30008 0422AB54
	ds_write_b32 v5, v8 offset:21120                           // 000000007994: D81A5280 00000805
	v_perm_b32 v34, v188, v186, s54                            // 00000000799C: D1ED0022 00DB75BC
	v_perm_b32 v35, v188, v186, s55                            // 0000000079A4: D1ED0023 00DF75BC
	v_perm_b32 v36, v192, v190, s54                            // 0000000079AC: D1ED0024 00DB7DC0
	v_perm_b32 v37, v192, v190, s55                            // 0000000079B4: D1ED0025 00DF7DC0
	v_perm_b32 v218, v36, v34, s53                             // 0000000079BC: D1ED00DA 00D64524
	v_perm_b32 v219, v36, v34, s52                             // 0000000079C4: D1ED00DB 00D24524
	v_perm_b32 v220, v37, v35, s53                             // 0000000079CC: D1ED00DC 00D64725
	v_perm_b32 v221, v37, v35, s52                             // 0000000079D4: D1ED00DD 00D24725
	v_accvgpr_write_b32 a108, v218                             // 0000000079DC: D3D9406C 180001DA
	v_accvgpr_write_b32 a112, v219                             // 0000000079E4: D3D94070 180001DB
	v_accvgpr_write_b32 a116, v220                             // 0000000079EC: D3D94074 180001DC
	v_accvgpr_write_b32 a120, v221                             // 0000000079F4: D3D94078 180001DD
	v_perm_b32 v34, v189, v187, s54                            // 0000000079FC: D1ED0022 00DB77BD
	v_perm_b32 v35, v189, v187, s55                            // 000000007A04: D1ED0023 00DF77BD
	v_perm_b32 v36, v193, v191, s54                            // 000000007A0C: D1ED0024 00DB7FC1
	v_perm_b32 v37, v193, v191, s55                            // 000000007A14: D1ED0025 00DF7FC1
	v_perm_b32 v218, v36, v34, s53                             // 000000007A1C: D1ED00DA 00D64524
	v_perm_b32 v219, v36, v34, s52                             // 000000007A24: D1ED00DB 00D24524
	v_perm_b32 v220, v37, v35, s53                             // 000000007A2C: D1ED00DC 00D64725
	v_perm_b32 v221, v37, v35, s52                             // 000000007A34: D1ED00DD 00D24725
	v_accvgpr_write_b32 a124, v218                             // 000000007A3C: D3D9407C 180001DA
	v_accvgpr_write_b32 a128, v219                             // 000000007A44: D3D94080 180001DB
	v_accvgpr_write_b32 a132, v220                             // 000000007A4C: D3D94084 180001DC
	v_accvgpr_write_b32 a136, v221                             // 000000007A54: D3D94088 180001DD
	s_waitcnt lgkmcnt(0)                                       // 000000007A5C: BF8CC07F
	s_barrier                                                  // 000000007A60: BF8A0000
	v_perm_b32 v34, v196, v194, s54                            // 000000007A64: D1ED0022 00DB85C4
	v_perm_b32 v35, v196, v194, s55                            // 000000007A6C: D1ED0023 00DF85C4
	v_perm_b32 v36, v200, v198, s54                            // 000000007A74: D1ED0024 00DB8DC8
	v_perm_b32 v37, v200, v198, s55                            // 000000007A7C: D1ED0025 00DF8DC8
	v_perm_b32 v218, v36, v34, s53                             // 000000007A84: D1ED00DA 00D64524
	v_perm_b32 v219, v36, v34, s52                             // 000000007A8C: D1ED00DB 00D24524
	v_perm_b32 v220, v37, v35, s53                             // 000000007A94: D1ED00DC 00D64725
	v_perm_b32 v221, v37, v35, s52                             // 000000007A9C: D1ED00DD 00D24725
	v_accvgpr_write_b32 a109, v218                             // 000000007AA4: D3D9406D 180001DA
	v_accvgpr_write_b32 a113, v219                             // 000000007AAC: D3D94071 180001DB
	v_accvgpr_write_b32 a117, v220                             // 000000007AB4: D3D94075 180001DC
	v_accvgpr_write_b32 a121, v221                             // 000000007ABC: D3D94079 180001DD
	ds_read_b32 v58, v4 offset:21120                           // 000000007AC4: D86C5280 3A000004
	ds_read_b32 v59, v4 offset:21184                           // 000000007ACC: D86C52C0 3B000004
	ds_read_b32 v60, v4 offset:21248                           // 000000007AD4: D86C5300 3C000004
	ds_read_b32 v61, v4 offset:21312                           // 000000007ADC: D86C5340 3D000004
	ds_read_b32 v62, v4 offset:21376                           // 000000007AE4: D86C5380 3E000004
	ds_read_b32 v63, v4 offset:21440                           // 000000007AEC: D86C53C0 3F000004
	ds_read_b32 v64, v4 offset:21504                           // 000000007AF4: D86C5400 40000004
	ds_read_b32 v65, v4 offset:21568                           // 000000007AFC: D86C5440 41000004
	ds_read_b32 v66, v4 offset:21632                           // 000000007B04: D86C5480 42000004
	ds_read_b32 v67, v4 offset:21696                           // 000000007B0C: D86C54C0 43000004
	ds_read_b32 v68, v4 offset:21760                           // 000000007B14: D86C5500 44000004
	ds_read_b32 v69, v4 offset:21824                           // 000000007B1C: D86C5540 45000004
	ds_read_b32 v70, v4 offset:21888                           // 000000007B24: D86C5580 46000004
	ds_read_b32 v71, v4 offset:21952                           // 000000007B2C: D86C55C0 47000004
	ds_read_b32 v72, v4 offset:22016                           // 000000007B34: D86C5600 48000004
	ds_read_b32 v73, v4 offset:22080                           // 000000007B3C: D86C5640 49000004
	v_perm_b32 v34, v197, v195, s54                            // 000000007B44: D1ED0022 00DB87C5
	v_perm_b32 v35, v197, v195, s55                            // 000000007B4C: D1ED0023 00DF87C5
	v_perm_b32 v36, v201, v199, s54                            // 000000007B54: D1ED0024 00DB8FC9
	v_perm_b32 v37, v201, v199, s55                            // 000000007B5C: D1ED0025 00DF8FC9
	v_perm_b32 v218, v36, v34, s53                             // 000000007B64: D1ED00DA 00D64524
	v_perm_b32 v219, v36, v34, s52                             // 000000007B6C: D1ED00DB 00D24524
	v_perm_b32 v220, v37, v35, s53                             // 000000007B74: D1ED00DC 00D64725
	v_perm_b32 v221, v37, v35, s52                             // 000000007B7C: D1ED00DD 00D24725
	v_accvgpr_write_b32 a125, v218                             // 000000007B84: D3D9407D 180001DA
	v_accvgpr_write_b32 a129, v219                             // 000000007B8C: D3D94081 180001DB
	v_accvgpr_write_b32 a133, v220                             // 000000007B94: D3D94085 180001DC
	v_accvgpr_write_b32 a137, v221                             // 000000007B9C: D3D94089 180001DD
	s_waitcnt lgkmcnt(0)                                       // 000000007BA4: BF8CC07F
	v_max3_f32 v8, v58, v59, v8                                // 000000007BA8: D1D30008 0422773A
	v_max3_f32 v8, v60, v61, v8                                // 000000007BB0: D1D30008 04227B3C
	v_max3_f32 v8, v62, v63, v8                                // 000000007BB8: D1D30008 04227F3E
	v_max3_f32 v8, v64, v65, v8                                // 000000007BC0: D1D30008 04228340
	v_max3_f32 v8, v66, v67, v8                                // 000000007BC8: D1D30008 04228742
	v_max3_f32 v8, v68, v69, v8                                // 000000007BD0: D1D30008 04228B44
	v_max3_f32 v8, v70, v71, v8                                // 000000007BD8: D1D30008 04228F46
	v_max3_f32 v8, v72, v73, v8                                // 000000007BE0: D1D30008 04229348
	v_cmp_eq_u32_e64 s[34:35], v11, v12                        // 000000007BE8: D0CA0022 0002190B
	v_max_f32_e32 v14, v8, v12                                 // 000000007BF0: 161C1908
	v_sub_f32_e32 v20, v12, v14                                // 000000007BF4: 04281D0C
	v_cndmask_b32_e64 v20, v20, 0, s[34:35]                    // 000000007BF8: D1000014 00890114
	v_mov_b32_e32 v12, v14                                     // 000000007C00: 7E18030E
	v_mul_f32_e32 v9, s5, v14                                  // 000000007C04: 0A121C05
	v_mul_f32_e32 v20, s5, v20                                 // 000000007C08: 0A282805
	v_exp_f32_e32 v20, v20                                     // 000000007C0C: 7E284114
	s_and_b32 s56, s48, 0xff                                   // 000000007C10: 8638FF30 000000FF
	v_mov_b32_e32 v46, s56                                     // 000000007C18: 7E5C0238
	v_lshrrev_b32_e32 v47, 4, v0                               // 000000007C1C: 205E0084
	v_mul_i32_i24_e32 v47, 4, v47                              // 000000007C20: 0C5E5E84
	s_mul_i32 s56, s7, 16                                      // 000000007C24: 92389007
	v_add_u32_e32 v47, s56, v47                                // 000000007C28: 685E5E38
	v_add_u32_e32 v48, 1, v47                                  // 000000007C2C: 68605E81
	v_add_u32_e32 v49, 2, v47                                  // 000000007C30: 68625E82
	v_add_u32_e32 v50, 3, v47                                  // 000000007C34: 68645E83
	v_cmp_lt_u32_e64 s[34:35], v47, v46                        // 000000007C38: D0C90022 00025D2F
	v_add_u32_e32 v47, 64, v47                                 // 000000007C40: 685E5EC0
	s_nop 0                                                    // 000000007C44: BF800000
	v_cndmask_b32_e64 v82, v11, v82, s[34:35]                  // 000000007C48: D1000052 008AA50B
	v_cmp_lt_u32_e64 s[34:35], v48, v46                        // 000000007C50: D0C90022 00025D30
	v_add_u32_e32 v48, 64, v48                                 // 000000007C58: 686060C0
	s_nop 0                                                    // 000000007C5C: BF800000
	v_cndmask_b32_e64 v83, v11, v83, s[34:35]                  // 000000007C60: D1000053 008AA70B
	v_cmp_lt_u32_e64 s[34:35], v49, v46                        // 000000007C68: D0C90022 00025D31
	v_add_u32_e32 v49, 64, v49                                 // 000000007C70: 686262C0
	s_nop 0                                                    // 000000007C74: BF800000
	v_cndmask_b32_e64 v84, v11, v84, s[34:35]                  // 000000007C78: D1000054 008AA90B
	v_cmp_lt_u32_e64 s[34:35], v50, v46                        // 000000007C80: D0C90022 00025D32
	v_add_u32_e32 v50, 64, v50                                 // 000000007C88: 686464C0
	s_nop 0                                                    // 000000007C8C: BF800000
	v_cndmask_b32_e64 v85, v11, v85, s[34:35]                  // 000000007C90: D1000055 008AAB0B
	v_fma_f32 v82, v82, s5, -v9                                // 000000007C98: D1CB0052 84240B52
	v_fma_f32 v83, v83, s5, -v9                                // 000000007CA0: D1CB0053 84240B53
	v_fma_f32 v84, v84, s5, -v9                                // 000000007CA8: D1CB0054 84240B54
	v_fma_f32 v85, v85, s5, -v9                                // 000000007CB0: D1CB0055 84240B55
	v_exp_f32_e32 v82, v82                                     // 000000007CB8: 7EA44152
	v_exp_f32_e32 v83, v83                                     // 000000007CBC: 7EA64153
	v_exp_f32_e32 v84, v84                                     // 000000007CC0: 7EA84154
	v_exp_f32_e32 v85, v85                                     // 000000007CC4: 7EAA4155
	v_mul_f32_e32 v15, v20, v15                                // 000000007CC8: 0A1E1F14
	v_mov_b32_e32 v17, v82                                     // 000000007CCC: 7E220352
	v_add_f32_e32 v17, v83, v17                                // 000000007CD0: 02222353
	v_add_f32_e32 v17, v84, v17                                // 000000007CD4: 02222354
	v_add_f32_e32 v17, v85, v17                                // 000000007CD8: 02222355
	v_add_f32_e32 v15, v17, v15                                // 000000007CDC: 021E1F11
	v_cvt_pk_fp8_f32 v82, v82, v83                             // 000000007CE0: D2A20052 0002A752
	v_cvt_pk_fp8_f32 v82, v84, v85 op_sel:[0,0,1]              // 000000007CE8: D2A24052 0002AB54
	ds_write_b32 v7, v82                                       // 000000007CF0: D81A0000 00005207
	s_waitcnt lgkmcnt(0)                                       // 000000007CF8: BF8CC07F
	s_barrier                                                  // 000000007CFC: BF8A0000
	ds_read_b64 v[82:83], v6                                   // 000000007D00: D8EC0000 52000006
	ds_read_b64 v[84:85], v6 offset:32                         // 000000007D08: D8EC0020 54000006
	v_mov_b32_e32 v34, v20                                     // 000000007D10: 7E440314
	v_mov_b32_e32 v35, v20                                     // 000000007D14: 7E460314
	v_pk_mul_f32 v[90:91], v[34:35], v[90:91]                  // 000000007D18: D3B1405A 1802B522
	v_pk_mul_f32 v[92:93], v[34:35], v[92:93]                  // 000000007D20: D3B1405C 1802B922
	v_pk_mul_f32 v[94:95], v[34:35], v[94:95]                  // 000000007D28: D3B1405E 1802BD22
	v_pk_mul_f32 v[96:97], v[34:35], v[96:97]                  // 000000007D30: D3B14060 1802C122
	v_pk_mul_f32 v[98:99], v[34:35], v[98:99]                  // 000000007D38: D3B14062 1802C522
	v_pk_mul_f32 v[100:101], v[34:35], v[100:101]              // 000000007D40: D3B14064 1802C922
	v_pk_mul_f32 v[102:103], v[34:35], v[102:103]              // 000000007D48: D3B14066 1802CD22
	v_pk_mul_f32 v[104:105], v[34:35], v[104:105]              // 000000007D50: D3B14068 1802D122
	v_pk_mul_f32 v[106:107], v[34:35], v[106:107]              // 000000007D58: D3B1406A 1802D522
	v_pk_mul_f32 v[108:109], v[34:35], v[108:109]              // 000000007D60: D3B1406C 1802D922
	v_pk_mul_f32 v[110:111], v[34:35], v[110:111]              // 000000007D68: D3B1406E 1802DD22
	v_pk_mul_f32 v[112:113], v[34:35], v[112:113]              // 000000007D70: D3B14070 1802E122
	v_pk_mul_f32 v[114:115], v[34:35], v[114:115]              // 000000007D78: D3B14072 1802E522
	v_pk_mul_f32 v[116:117], v[34:35], v[116:117]              // 000000007D80: D3B14074 1802E922
	v_pk_mul_f32 v[118:119], v[34:35], v[118:119]              // 000000007D88: D3B14076 1802ED22
	v_pk_mul_f32 v[120:121], v[34:35], v[120:121]              // 000000007D90: D3B14078 1802F122
	s_waitcnt lgkmcnt(0)                                       // 000000007D98: BF8CC07F
	s_cmp_le_i32 s83, s82                                      // 000000007D9C: BF055253
	s_cbranch_scc1 label_16CC                                  // 000000007DA0: BF850023
	s_add_u32 s57, s82, 1                                      // 000000007DA4: 80398152
	v_mov_b32_e32 v38, s57                                     // 000000007DA8: 7E4C0239
	s_sub_u32 s56, s83, 63                                     // 000000007DAC: 80B8BF53
	s_mul_i32 s57, s7, 16                                      // 000000007DB0: 92399007
	v_lshrrev_b32_e32 v47, 4, v0                               // 000000007DB4: 205E0084
	v_mul_i32_i24_e32 v47, 4, v47                              // 000000007DB8: 0C5E5E84
	v_add_u32_e32 v47, s56, v47                                // 000000007DBC: 685E5E38
	v_add_u32_e32 v47, s57, v47                                // 000000007DC0: 685E5E39
	v_add_u32_e32 v48, 1, v47                                  // 000000007DC4: 68605E81
	v_add_u32_e32 v49, 2, v47                                  // 000000007DC8: 68625E82
	v_add_u32_e32 v50, 3, v47                                  // 000000007DCC: 68645E83
	v_cmp_le_u32_e64 s[34:35], v47, v38                        // 000000007DD0: D0CB0022 00024D2F
	v_add_u32_e32 v47, 64, v47                                 // 000000007DD8: 685E5EC0
	s_nop 0                                                    // 000000007DDC: BF800000
	v_cndmask_b32_e64 v86, v11, v86, s[34:35]                  // 000000007DE0: D1000056 008AAD0B
	v_cmp_le_u32_e64 s[34:35], v48, v38                        // 000000007DE8: D0CB0022 00024D30
	v_add_u32_e32 v48, 64, v48                                 // 000000007DF0: 686060C0
	s_nop 0                                                    // 000000007DF4: BF800000
	v_cndmask_b32_e64 v87, v11, v87, s[34:35]                  // 000000007DF8: D1000057 008AAF0B
	v_cmp_le_u32_e64 s[34:35], v49, v38                        // 000000007E00: D0CB0022 00024D31
	v_add_u32_e32 v49, 64, v49                                 // 000000007E08: 686262C0
	s_nop 0                                                    // 000000007E0C: BF800000
	v_cndmask_b32_e64 v88, v11, v88, s[34:35]                  // 000000007E10: D1000058 008AB10B
	v_cmp_le_u32_e64 s[34:35], v50, v38                        // 000000007E18: D0CB0022 00024D32
	v_add_u32_e32 v50, 64, v50                                 // 000000007E20: 686464C0
	s_nop 0                                                    // 000000007E24: BF800000
	v_cndmask_b32_e64 v89, v11, v89, s[34:35]                  // 000000007E28: D1000059 008AB30B

0000000000007e30 <label_16CC>:
	s_add_u32 s83, s84, s83                                    // 000000007E30: 80535354
	v_mov_b32_e32 v8, v86                                      // 000000007E34: 7E100356
	v_max3_f32 v8, v86, v87, v8                                // 000000007E38: D1D30008 0422AF56
	v_max3_f32 v8, v88, v89, v8                                // 000000007E40: D1D30008 0422B358
	ds_write_b32 v5, v8 offset:21120                           // 000000007E48: D81A5280 00000805
	v_perm_b32 v34, v204, v202, s54                            // 000000007E50: D1ED0022 00DB95CC
	v_perm_b32 v35, v204, v202, s55                            // 000000007E58: D1ED0023 00DF95CC
	v_perm_b32 v36, v208, v206, s54                            // 000000007E60: D1ED0024 00DB9DD0
	v_perm_b32 v37, v208, v206, s55                            // 000000007E68: D1ED0025 00DF9DD0
	v_perm_b32 v218, v36, v34, s53                             // 000000007E70: D1ED00DA 00D64524
	v_perm_b32 v219, v36, v34, s52                             // 000000007E78: D1ED00DB 00D24524
	v_perm_b32 v220, v37, v35, s53                             // 000000007E80: D1ED00DC 00D64725
	v_perm_b32 v221, v37, v35, s52                             // 000000007E88: D1ED00DD 00D24725
	v_accvgpr_write_b32 a110, v218                             // 000000007E90: D3D9406E 180001DA
	v_accvgpr_write_b32 a114, v219                             // 000000007E98: D3D94072 180001DB
	v_accvgpr_write_b32 a118, v220                             // 000000007EA0: D3D94076 180001DC
	v_accvgpr_write_b32 a122, v221                             // 000000007EA8: D3D9407A 180001DD
	v_perm_b32 v34, v205, v203, s54                            // 000000007EB0: D1ED0022 00DB97CD
	v_perm_b32 v35, v205, v203, s55                            // 000000007EB8: D1ED0023 00DF97CD
	v_perm_b32 v36, v209, v207, s54                            // 000000007EC0: D1ED0024 00DB9FD1
	v_perm_b32 v37, v209, v207, s55                            // 000000007EC8: D1ED0025 00DF9FD1
	v_perm_b32 v218, v36, v34, s53                             // 000000007ED0: D1ED00DA 00D64524
	v_perm_b32 v219, v36, v34, s52                             // 000000007ED8: D1ED00DB 00D24524
	v_perm_b32 v220, v37, v35, s53                             // 000000007EE0: D1ED00DC 00D64725
	v_perm_b32 v221, v37, v35, s52                             // 000000007EE8: D1ED00DD 00D24725
	v_accvgpr_write_b32 a126, v218                             // 000000007EF0: D3D9407E 180001DA
	v_accvgpr_write_b32 a130, v219                             // 000000007EF8: D3D94082 180001DB
	v_accvgpr_write_b32 a134, v220                             // 000000007F00: D3D94086 180001DC
	v_accvgpr_write_b32 a138, v221                             // 000000007F08: D3D9408A 180001DD
	s_waitcnt lgkmcnt(0)                                       // 000000007F10: BF8CC07F
	s_barrier                                                  // 000000007F14: BF8A0000
	v_perm_b32 v34, v212, v210, s54                            // 000000007F18: D1ED0022 00DBA5D4
	v_perm_b32 v35, v212, v210, s55                            // 000000007F20: D1ED0023 00DFA5D4
	v_perm_b32 v36, v216, v214, s54                            // 000000007F28: D1ED0024 00DBADD8
	v_perm_b32 v37, v216, v214, s55                            // 000000007F30: D1ED0025 00DFADD8
	v_perm_b32 v218, v36, v34, s53                             // 000000007F38: D1ED00DA 00D64524
	v_perm_b32 v219, v36, v34, s52                             // 000000007F40: D1ED00DB 00D24524
	v_perm_b32 v220, v37, v35, s53                             // 000000007F48: D1ED00DC 00D64725
	v_perm_b32 v221, v37, v35, s52                             // 000000007F50: D1ED00DD 00D24725
	v_accvgpr_write_b32 a111, v218                             // 000000007F58: D3D9406F 180001DA
	v_accvgpr_write_b32 a115, v219                             // 000000007F60: D3D94073 180001DB
	v_accvgpr_write_b32 a119, v220                             // 000000007F68: D3D94077 180001DC
	v_accvgpr_write_b32 a123, v221                             // 000000007F70: D3D9407B 180001DD
	ds_read_b32 v58, v4 offset:21120                           // 000000007F78: D86C5280 3A000004
	ds_read_b32 v59, v4 offset:21184                           // 000000007F80: D86C52C0 3B000004
	ds_read_b32 v60, v4 offset:21248                           // 000000007F88: D86C5300 3C000004
	ds_read_b32 v61, v4 offset:21312                           // 000000007F90: D86C5340 3D000004
	ds_read_b32 v62, v4 offset:21376                           // 000000007F98: D86C5380 3E000004
	ds_read_b32 v63, v4 offset:21440                           // 000000007FA0: D86C53C0 3F000004
	ds_read_b32 v64, v4 offset:21504                           // 000000007FA8: D86C5400 40000004
	ds_read_b32 v65, v4 offset:21568                           // 000000007FB0: D86C5440 41000004
	ds_read_b32 v66, v4 offset:21632                           // 000000007FB8: D86C5480 42000004
	ds_read_b32 v67, v4 offset:21696                           // 000000007FC0: D86C54C0 43000004
	ds_read_b32 v68, v4 offset:21760                           // 000000007FC8: D86C5500 44000004
	ds_read_b32 v69, v4 offset:21824                           // 000000007FD0: D86C5540 45000004
	ds_read_b32 v70, v4 offset:21888                           // 000000007FD8: D86C5580 46000004
	ds_read_b32 v71, v4 offset:21952                           // 000000007FE0: D86C55C0 47000004
	ds_read_b32 v72, v4 offset:22016                           // 000000007FE8: D86C5600 48000004
	ds_read_b32 v73, v4 offset:22080                           // 000000007FF0: D86C5640 49000004
	v_perm_b32 v34, v213, v211, s54                            // 000000007FF8: D1ED0022 00DBA7D5
	v_perm_b32 v35, v213, v211, s55                            // 000000008000: D1ED0023 00DFA7D5
	v_perm_b32 v36, v217, v215, s54                            // 000000008008: D1ED0024 00DBAFD9
	v_perm_b32 v37, v217, v215, s55                            // 000000008010: D1ED0025 00DFAFD9
	v_perm_b32 v218, v36, v34, s53                             // 000000008018: D1ED00DA 00D64524
	v_perm_b32 v219, v36, v34, s52                             // 000000008020: D1ED00DB 00D24524
	v_perm_b32 v220, v37, v35, s53                             // 000000008028: D1ED00DC 00D64725
	v_perm_b32 v221, v37, v35, s52                             // 000000008030: D1ED00DD 00D24725
	v_accvgpr_write_b32 a127, v218                             // 000000008038: D3D9407F 180001DA
	v_accvgpr_write_b32 a131, v219                             // 000000008040: D3D94083 180001DB
	v_accvgpr_write_b32 a135, v220                             // 000000008048: D3D94087 180001DC
	v_accvgpr_write_b32 a139, v221                             // 000000008050: D3D9408B 180001DD
	s_waitcnt lgkmcnt(0)                                       // 000000008058: BF8CC07F
	v_max3_f32 v8, v58, v59, v8                                // 00000000805C: D1D30008 0422773A
	v_max3_f32 v8, v60, v61, v8                                // 000000008064: D1D30008 04227B3C
	v_max3_f32 v8, v62, v63, v8                                // 00000000806C: D1D30008 04227F3E
	v_max3_f32 v8, v64, v65, v8                                // 000000008074: D1D30008 04228340
	v_max3_f32 v8, v66, v67, v8                                // 00000000807C: D1D30008 04228742
	v_max3_f32 v8, v68, v69, v8                                // 000000008084: D1D30008 04228B44
	v_max3_f32 v8, v70, v71, v8                                // 00000000808C: D1D30008 04228F46
	v_max3_f32 v8, v72, v73, v8                                // 000000008094: D1D30008 04229348
	v_cmp_eq_u32_e64 s[34:35], v11, v13                        // 00000000809C: D0CA0022 00021B0B
	v_max_f32_e32 v14, v8, v13                                 // 0000000080A4: 161C1B08
	v_sub_f32_e32 v21, v13, v14                                // 0000000080A8: 042A1D0D
	v_cndmask_b32_e64 v21, v21, 0, s[34:35]                    // 0000000080AC: D1000015 00890115
	v_mov_b32_e32 v13, v14                                     // 0000000080B4: 7E1A030E
	v_mul_f32_e32 v9, s5, v14                                  // 0000000080B8: 0A121C05
	v_mul_f32_e32 v21, s5, v21                                 // 0000000080BC: 0A2A2A05
	v_exp_f32_e32 v21, v21                                     // 0000000080C0: 7E2A4115
	s_and_b32 s56, s48, 0xff                                   // 0000000080C4: 8638FF30 000000FF
	v_mov_b32_e32 v46, s56                                     // 0000000080CC: 7E5C0238
	v_lshrrev_b32_e32 v47, 4, v0                               // 0000000080D0: 205E0084
	v_mul_i32_i24_e32 v47, 4, v47                              // 0000000080D4: 0C5E5E84
	s_mul_i32 s56, s7, 16                                      // 0000000080D8: 92389007
	v_add_u32_e32 v47, s56, v47                                // 0000000080DC: 685E5E38
	v_add_u32_e32 v48, 1, v47                                  // 0000000080E0: 68605E81
	v_add_u32_e32 v49, 2, v47                                  // 0000000080E4: 68625E82
	v_add_u32_e32 v50, 3, v47                                  // 0000000080E8: 68645E83
	v_cmp_lt_u32_e64 s[34:35], v47, v46                        // 0000000080EC: D0C90022 00025D2F
	v_add_u32_e32 v47, 64, v47                                 // 0000000080F4: 685E5EC0
	s_nop 0                                                    // 0000000080F8: BF800000
	v_cndmask_b32_e64 v86, v11, v86, s[34:35]                  // 0000000080FC: D1000056 008AAD0B
	v_cmp_lt_u32_e64 s[34:35], v48, v46                        // 000000008104: D0C90022 00025D30
	v_add_u32_e32 v48, 64, v48                                 // 00000000810C: 686060C0
	s_nop 0                                                    // 000000008110: BF800000
	v_cndmask_b32_e64 v87, v11, v87, s[34:35]                  // 000000008114: D1000057 008AAF0B
	v_cmp_lt_u32_e64 s[34:35], v49, v46                        // 00000000811C: D0C90022 00025D31
	v_add_u32_e32 v49, 64, v49                                 // 000000008124: 686262C0
	s_nop 0                                                    // 000000008128: BF800000
	v_cndmask_b32_e64 v88, v11, v88, s[34:35]                  // 00000000812C: D1000058 008AB10B
	v_cmp_lt_u32_e64 s[34:35], v50, v46                        // 000000008134: D0C90022 00025D32
	v_add_u32_e32 v50, 64, v50                                 // 00000000813C: 686464C0
	s_nop 0                                                    // 000000008140: BF800000
	v_cndmask_b32_e64 v89, v11, v89, s[34:35]                  // 000000008144: D1000059 008AB30B
	v_fma_f32 v86, v86, s5, -v9                                // 00000000814C: D1CB0056 84240B56
	v_fma_f32 v87, v87, s5, -v9                                // 000000008154: D1CB0057 84240B57
	v_fma_f32 v88, v88, s5, -v9                                // 00000000815C: D1CB0058 84240B58
	v_fma_f32 v89, v89, s5, -v9                                // 000000008164: D1CB0059 84240B59
	v_exp_f32_e32 v86, v86                                     // 00000000816C: 7EAC4156
	v_exp_f32_e32 v87, v87                                     // 000000008170: 7EAE4157
	v_exp_f32_e32 v88, v88                                     // 000000008174: 7EB04158
	v_exp_f32_e32 v89, v89                                     // 000000008178: 7EB24159
	v_mul_f32_e32 v16, v21, v16                                // 00000000817C: 0A202115
	v_mov_b32_e32 v17, v86                                     // 000000008180: 7E220356
	v_add_f32_e32 v17, v87, v17                                // 000000008184: 02222357
	v_add_f32_e32 v17, v88, v17                                // 000000008188: 02222358
	v_add_f32_e32 v17, v89, v17                                // 00000000818C: 02222359
	v_add_f32_e32 v16, v17, v16                                // 000000008190: 02202111
	v_cvt_pk_fp8_f32 v86, v86, v87                             // 000000008194: D2A20056 0002AF56
	v_cvt_pk_fp8_f32 v86, v88, v89 op_sel:[0,0,1]              // 00000000819C: D2A24056 0002B358
	ds_write_b32 v7, v86                                       // 0000000081A4: D81A0000 00005607
	v_mov_b32_e32 v34, v21                                     // 0000000081AC: 7E440315
	v_mov_b32_e32 v35, v21                                     // 0000000081B0: 7E460315
	v_pk_mul_f32 v[122:123], v[34:35], v[122:123]              // 0000000081B4: D3B1407A 1802F522
	v_pk_mul_f32 v[124:125], v[34:35], v[124:125]              // 0000000081BC: D3B1407C 1802F922
	v_pk_mul_f32 v[126:127], v[34:35], v[126:127]              // 0000000081C4: D3B1407E 1802FD22
	v_pk_mul_f32 v[128:129], v[34:35], v[128:129]              // 0000000081CC: D3B14080 18030122
	v_pk_mul_f32 v[130:131], v[34:35], v[130:131]              // 0000000081D4: D3B14082 18030522
	v_pk_mul_f32 v[132:133], v[34:35], v[132:133]              // 0000000081DC: D3B14084 18030922
	v_pk_mul_f32 v[134:135], v[34:35], v[134:135]              // 0000000081E4: D3B14086 18030D22
	v_pk_mul_f32 v[136:137], v[34:35], v[136:137]              // 0000000081EC: D3B14088 18031122
	v_pk_mul_f32 v[138:139], v[34:35], v[138:139]              // 0000000081F4: D3B1408A 18031522
	v_pk_mul_f32 v[140:141], v[34:35], v[140:141]              // 0000000081FC: D3B1408C 18031922
	v_pk_mul_f32 v[142:143], v[34:35], v[142:143]              // 000000008204: D3B1408E 18031D22
	v_pk_mul_f32 v[144:145], v[34:35], v[144:145]              // 00000000820C: D3B14090 18032122
	v_pk_mul_f32 v[146:147], v[34:35], v[146:147]              // 000000008214: D3B14092 18032522
	v_pk_mul_f32 v[148:149], v[34:35], v[148:149]              // 00000000821C: D3B14094 18032922
	v_pk_mul_f32 v[150:151], v[34:35], v[150:151]              // 000000008224: D3B14096 18032D22
	v_pk_mul_f32 v[152:153], v[34:35], v[152:153]              // 00000000822C: D3B14098 18033122
	s_waitcnt lgkmcnt(0)                                       // 000000008234: BF8CC07F
	s_barrier                                                  // 000000008238: BF8A0000
	ds_read_b64 v[86:87], v6                                   // 00000000823C: D8EC0000 56000006
	ds_read_b64 v[88:89], v6 offset:32                         // 000000008244: D8EC0020 58000006
	v_mul_u32_u24_dpp v42, v26, v10 row_newbcast:0 row_mask:0xf bank_mask:0xf// 00000000824C: 105414FA FF01501A
	v_mul_u32_u24_dpp v43, v26, v10 row_newbcast:1 row_mask:0xf bank_mask:0xf// 000000008254: 105614FA FF01511A
	v_mul_u32_u24_dpp v44, v26, v10 row_newbcast:2 row_mask:0xf bank_mask:0xf// 00000000825C: 105814FA FF01521A
	v_mul_u32_u24_dpp v45, v26, v10 row_newbcast:3 row_mask:0xf bank_mask:0xf// 000000008264: 105A14FA FF01531A
	v_mul_u32_u24_dpp v46, v26, v10 row_newbcast:4 row_mask:0xf bank_mask:0xf// 00000000826C: 105C14FA FF01541A
	v_mul_u32_u24_dpp v47, v26, v10 row_newbcast:5 row_mask:0xf bank_mask:0xf// 000000008274: 105E14FA FF01551A
	v_mul_u32_u24_dpp v48, v26, v10 row_newbcast:6 row_mask:0xf bank_mask:0xf// 00000000827C: 106014FA FF01561A
	v_mul_u32_u24_dpp v49, v26, v10 row_newbcast:7 row_mask:0xf bank_mask:0xf// 000000008284: 106214FA FF01571A
	v_mul_u32_u24_dpp v50, v26, v10 row_newbcast:8 row_mask:0xf bank_mask:0xf// 00000000828C: 106414FA FF01581A
	v_mul_u32_u24_dpp v51, v26, v10 row_newbcast:9 row_mask:0xf bank_mask:0xf// 000000008294: 106614FA FF01591A
	v_mul_u32_u24_dpp v52, v26, v10 row_newbcast:10 row_mask:0xf bank_mask:0xf// 00000000829C: 106814FA FF015A1A
	v_mul_u32_u24_dpp v53, v26, v10 row_newbcast:11 row_mask:0xf bank_mask:0xf// 0000000082A4: 106A14FA FF015B1A
	v_mul_u32_u24_dpp v54, v26, v10 row_newbcast:12 row_mask:0xf bank_mask:0xf// 0000000082AC: 106C14FA FF015C1A
	v_mul_u32_u24_dpp v55, v26, v10 row_newbcast:13 row_mask:0xf bank_mask:0xf// 0000000082B4: 106E14FA FF015D1A
	v_mul_u32_u24_dpp v56, v26, v10 row_newbcast:14 row_mask:0xf bank_mask:0xf// 0000000082BC: 107014FA FF015E1A
	v_mul_u32_u24_dpp v57, v26, v10 row_newbcast:15 row_mask:0xf bank_mask:0xf// 0000000082C4: 107214FA FF015F1A
	s_mov_b32 s56, m0                                          // 0000000082CC: BEB8007C
	s_set_gpr_idx_on s51, gpr_idx(SRC0)                        // 0000000082D0: BF110133
	v_add_u32_e32 v38, v42, v3                                 // 0000000082D4: 684C072A
	v_add_u32_e32 v39, v43, v3                                 // 0000000082D8: 684E072B
	v_add_u32_e32 v40, v44, v3                                 // 0000000082DC: 6850072C
	v_add_u32_e32 v41, v45, v3                                 // 0000000082E0: 6852072D
	s_set_gpr_idx_off                                          // 0000000082E4: BF9C0000
	s_mov_b32 m0, s56                                          // 0000000082E8: BEFC0038
	v_add_u32_e32 v42, v42, v2                                 // 0000000082EC: 6854052A
	v_add_u32_e32 v43, v43, v2                                 // 0000000082F0: 6856052B
	v_add_u32_e32 v44, v44, v2                                 // 0000000082F4: 6858052C
	v_add_u32_e32 v45, v45, v2                                 // 0000000082F8: 685A052D
	v_add_u32_e32 v46, v46, v2                                 // 0000000082FC: 685C052E
	v_add_u32_e32 v47, v47, v2                                 // 000000008300: 685E052F
	v_add_u32_e32 v48, v48, v2                                 // 000000008304: 68600530
	v_add_u32_e32 v49, v49, v2                                 // 000000008308: 68620531
	v_add_u32_e32 v50, v50, v2                                 // 00000000830C: 68640532
	v_add_u32_e32 v51, v51, v2                                 // 000000008310: 68660533
	v_add_u32_e32 v52, v52, v2                                 // 000000008314: 68680534
	v_add_u32_e32 v53, v53, v2                                 // 000000008318: 686A0535
	v_add_u32_e32 v54, v54, v2                                 // 00000000831C: 686C0536
	v_add_u32_e32 v55, v55, v2                                 // 000000008320: 686E0537
	v_add_u32_e32 v56, v56, v2                                 // 000000008324: 68700538
	v_add_u32_e32 v57, v57, v2                                 // 000000008328: 68720539
	s_waitcnt lgkmcnt(0)                                       // 00000000832C: BF8CC07F
	s_waitcnt vmcnt(0)                                         // 000000008330: BF8C0F70
	s_barrier                                                  // 000000008334: BF8A0000
	v_mfma_f32_16x16x32_fp8_fp8 v[90:93], a[108:109], v[82:83], v[90:93]// 000000008338: D3F3005A 0D6AA56C
	v_mfma_f32_16x16x32_fp8_fp8 v[90:93], a[110:111], v[84:85], v[90:93]// 000000008340: D3F3005A 0D6AA96E
	v_mfma_f32_16x16x32_fp8_fp8 v[94:97], a[112:113], v[82:83], v[94:97]// 000000008348: D3F3005E 0D7AA570
	v_mfma_f32_16x16x32_fp8_fp8 v[94:97], a[114:115], v[84:85], v[94:97]// 000000008350: D3F3005E 0D7AA972
	v_mfma_f32_16x16x32_fp8_fp8 v[98:101], a[116:117], v[82:83], v[98:101]// 000000008358: D3F30062 0D8AA574
	v_mfma_f32_16x16x32_fp8_fp8 v[98:101], a[118:119], v[84:85], v[98:101]// 000000008360: D3F30062 0D8AA976
	v_mfma_f32_16x16x32_fp8_fp8 v[102:105], a[120:121], v[82:83], v[102:105]// 000000008368: D3F30066 0D9AA578
	v_mfma_f32_16x16x32_fp8_fp8 v[102:105], a[122:123], v[84:85], v[102:105]// 000000008370: D3F30066 0D9AA97A
	v_mfma_f32_16x16x32_fp8_fp8 v[106:109], a[124:125], v[82:83], v[106:109]// 000000008378: D3F3006A 0DAAA57C
	v_mfma_f32_16x16x32_fp8_fp8 v[106:109], a[126:127], v[84:85], v[106:109]// 000000008380: D3F3006A 0DAAA97E
	v_mfma_f32_16x16x32_fp8_fp8 v[110:113], a[128:129], v[82:83], v[110:113]// 000000008388: D3F3006E 0DBAA580
	v_mfma_f32_16x16x32_fp8_fp8 v[110:113], a[130:131], v[84:85], v[110:113]// 000000008390: D3F3006E 0DBAA982
	v_mfma_f32_16x16x32_fp8_fp8 v[114:117], a[132:133], v[82:83], v[114:117]// 000000008398: D3F30072 0DCAA584
	v_mfma_f32_16x16x32_fp8_fp8 v[114:117], a[134:135], v[84:85], v[114:117]// 0000000083A0: D3F30072 0DCAA986
	v_mfma_f32_16x16x32_fp8_fp8 v[118:121], a[136:137], v[82:83], v[118:121]// 0000000083A8: D3F30076 0DDAA588
	v_mfma_f32_16x16x32_fp8_fp8 v[118:121], a[138:139], v[84:85], v[118:121]// 0000000083B0: D3F30076 0DDAA98A
	v_mfma_f32_16x16x32_fp8_fp8 v[122:125], a[108:109], v[86:87], v[122:125]// 0000000083B8: D3F3007A 0DEAAD6C
	v_mfma_f32_16x16x32_fp8_fp8 v[122:125], a[110:111], v[88:89], v[122:125]// 0000000083C0: D3F3007A 0DEAB16E
	v_mfma_f32_16x16x32_fp8_fp8 v[126:129], a[112:113], v[86:87], v[126:129]// 0000000083C8: D3F3007E 0DFAAD70
	v_mfma_f32_16x16x32_fp8_fp8 v[126:129], a[114:115], v[88:89], v[126:129]// 0000000083D0: D3F3007E 0DFAB172
	v_mfma_f32_16x16x32_fp8_fp8 v[130:133], a[116:117], v[86:87], v[130:133]// 0000000083D8: D3F30082 0E0AAD74
	v_mfma_f32_16x16x32_fp8_fp8 v[130:133], a[118:119], v[88:89], v[130:133]// 0000000083E0: D3F30082 0E0AB176
	v_mfma_f32_16x16x32_fp8_fp8 v[134:137], a[120:121], v[86:87], v[134:137]// 0000000083E8: D3F30086 0E1AAD78
	v_mfma_f32_16x16x32_fp8_fp8 v[134:137], a[122:123], v[88:89], v[134:137]// 0000000083F0: D3F30086 0E1AB17A
	v_mfma_f32_16x16x32_fp8_fp8 v[138:141], a[124:125], v[86:87], v[138:141]// 0000000083F8: D3F3008A 0E2AAD7C
	v_mfma_f32_16x16x32_fp8_fp8 v[138:141], a[126:127], v[88:89], v[138:141]// 000000008400: D3F3008A 0E2AB17E
	v_mfma_f32_16x16x32_fp8_fp8 v[142:145], a[128:129], v[86:87], v[142:145]// 000000008408: D3F3008E 0E3AAD80
	v_mfma_f32_16x16x32_fp8_fp8 v[142:145], a[130:131], v[88:89], v[142:145]// 000000008410: D3F3008E 0E3AB182
	v_mfma_f32_16x16x32_fp8_fp8 v[146:149], a[132:133], v[86:87], v[146:149]// 000000008418: D3F30092 0E4AAD84
	v_mfma_f32_16x16x32_fp8_fp8 v[146:149], a[134:135], v[88:89], v[146:149]// 000000008420: D3F30092 0E4AB186
	v_mfma_f32_16x16x32_fp8_fp8 v[150:153], a[136:137], v[86:87], v[150:153]// 000000008428: D3F30096 0E5AAD88
	v_mfma_f32_16x16x32_fp8_fp8 v[150:153], a[138:139], v[88:89], v[150:153]// 000000008430: D3F30096 0E5AB18A
	s_nop 8                                                    // 000000008438: BF800008
	s_branch label_1893                                        // 00000000843C: BF820000

0000000000008440 <label_1893>:
	ds_write_b32 v5, v15 offset:21120                          // 000000008440: D81A5280 00000F05
	s_waitcnt lgkmcnt(0)                                       // 000000008448: BF8CC07F
	s_barrier                                                  // 00000000844C: BF8A0000
	ds_read_b32 v58, v4 offset:21120                           // 000000008450: D86C5280 3A000004
	ds_read_b32 v59, v4 offset:21184                           // 000000008458: D86C52C0 3B000004
	ds_read_b32 v60, v4 offset:21248                           // 000000008460: D86C5300 3C000004
	ds_read_b32 v61, v4 offset:21312                           // 000000008468: D86C5340 3D000004
	ds_read_b32 v62, v4 offset:21376                           // 000000008470: D86C5380 3E000004
	ds_read_b32 v63, v4 offset:21440                           // 000000008478: D86C53C0 3F000004
	ds_read_b32 v64, v4 offset:21504                           // 000000008480: D86C5400 40000004
	ds_read_b32 v65, v4 offset:21568                           // 000000008488: D86C5440 41000004
	ds_read_b32 v66, v4 offset:21632                           // 000000008490: D86C5480 42000004
	ds_read_b32 v67, v4 offset:21696                           // 000000008498: D86C54C0 43000004
	ds_read_b32 v68, v4 offset:21760                           // 0000000084A0: D86C5500 44000004
	ds_read_b32 v69, v4 offset:21824                           // 0000000084A8: D86C5540 45000004
	ds_read_b32 v70, v4 offset:21888                           // 0000000084B0: D86C5580 46000004
	ds_read_b32 v71, v4 offset:21952                           // 0000000084B8: D86C55C0 47000004
	ds_read_b32 v72, v4 offset:22016                           // 0000000084C0: D86C5600 48000004
	ds_read_b32 v73, v4 offset:22080                           // 0000000084C8: D86C5640 49000004
	s_waitcnt lgkmcnt(0)                                       // 0000000084D0: BF8CC07F
	v_mov_b32_e32 v15, 0                                       // 0000000084D4: 7E1E0280
	v_add_f32_e32 v15, v58, v15                                // 0000000084D8: 021E1F3A
	v_add_f32_e32 v15, v59, v15                                // 0000000084DC: 021E1F3B
	v_add_f32_e32 v15, v60, v15                                // 0000000084E0: 021E1F3C
	v_add_f32_e32 v15, v61, v15                                // 0000000084E4: 021E1F3D
	v_add_f32_e32 v15, v62, v15                                // 0000000084E8: 021E1F3E
	v_add_f32_e32 v15, v63, v15                                // 0000000084EC: 021E1F3F
	v_add_f32_e32 v15, v64, v15                                // 0000000084F0: 021E1F40
	v_add_f32_e32 v15, v65, v15                                // 0000000084F4: 021E1F41
	v_add_f32_e32 v15, v66, v15                                // 0000000084F8: 021E1F42
	v_add_f32_e32 v15, v67, v15                                // 0000000084FC: 021E1F43
	v_add_f32_e32 v15, v68, v15                                // 000000008500: 021E1F44
	v_add_f32_e32 v15, v69, v15                                // 000000008504: 021E1F45
	v_add_f32_e32 v15, v70, v15                                // 000000008508: 021E1F46
	v_add_f32_e32 v15, v71, v15                                // 00000000850C: 021E1F47
	v_add_f32_e32 v15, v72, v15                                // 000000008510: 021E1F48
	v_add_f32_e32 v15, v73, v15                                // 000000008514: 021E1F49
	v_mul_f32_e64 v34, v12, s64                                // 000000008518: D1050022 0000810C
	v_log_f32_e32 v35, v15                                     // 000000008520: 7E46430F
	s_nop 1                                                    // 000000008524: BF800001
	v_rcp_f32_e32 v15, v15                                     // 000000008528: 7E1E450F
	s_nop 1                                                    // 00000000852C: BF800001
	v_fma_f32 v44, v35, s63, v34                               // 000000008530: D1CB002C 04887F23
	v_mul_f32_e32 v15, s43, v15                                // 000000008538: 0A1E1E2B
	v_mul_f32_e32 v90, v15, v90                                // 00000000853C: 0AB4B50F
	v_mul_f32_e32 v91, v15, v91                                // 000000008540: 0AB6B70F
	v_mul_f32_e32 v92, v15, v92                                // 000000008544: 0AB8B90F
	v_mul_f32_e32 v93, v15, v93                                // 000000008548: 0ABABB0F
	v_mul_f32_e32 v94, v15, v94                                // 00000000854C: 0ABCBD0F
	v_mul_f32_e32 v95, v15, v95                                // 000000008550: 0ABEBF0F
	v_mul_f32_e32 v96, v15, v96                                // 000000008554: 0AC0C10F
	v_mul_f32_e32 v97, v15, v97                                // 000000008558: 0AC2C30F
	v_mul_f32_e32 v98, v15, v98                                // 00000000855C: 0AC4C50F
	v_mul_f32_e32 v99, v15, v99                                // 000000008560: 0AC6C70F
	v_mul_f32_e32 v100, v15, v100                              // 000000008564: 0AC8C90F
	v_mul_f32_e32 v101, v15, v101                              // 000000008568: 0ACACB0F
	v_mul_f32_e32 v102, v15, v102                              // 00000000856C: 0ACCCD0F
	v_mul_f32_e32 v103, v15, v103                              // 000000008570: 0ACECF0F
	v_mul_f32_e32 v104, v15, v104                              // 000000008574: 0AD0D10F
	v_mul_f32_e32 v105, v15, v105                              // 000000008578: 0AD2D30F
	v_mul_f32_e32 v106, v15, v106                              // 00000000857C: 0AD4D50F
	v_mul_f32_e32 v107, v15, v107                              // 000000008580: 0AD6D70F
	v_mul_f32_e32 v108, v15, v108                              // 000000008584: 0AD8D90F
	v_mul_f32_e32 v109, v15, v109                              // 000000008588: 0ADADB0F
	v_mul_f32_e32 v110, v15, v110                              // 00000000858C: 0ADCDD0F
	v_mul_f32_e32 v111, v15, v111                              // 000000008590: 0ADEDF0F
	v_mul_f32_e32 v112, v15, v112                              // 000000008594: 0AE0E10F
	v_mul_f32_e32 v113, v15, v113                              // 000000008598: 0AE2E30F
	v_mul_f32_e32 v114, v15, v114                              // 00000000859C: 0AE4E50F
	v_mul_f32_e32 v115, v15, v115                              // 0000000085A0: 0AE6E70F
	v_mul_f32_e32 v116, v15, v116                              // 0000000085A4: 0AE8E90F
	v_mul_f32_e32 v117, v15, v117                              // 0000000085A8: 0AEAEB0F
	v_mul_f32_e32 v118, v15, v118                              // 0000000085AC: 0AECED0F
	v_mul_f32_e32 v119, v15, v119                              // 0000000085B0: 0AEEEF0F
	v_mul_f32_e32 v120, v15, v120                              // 0000000085B4: 0AF0F10F
	v_mul_f32_e32 v121, v15, v121                              // 0000000085B8: 0AF2F30F
	s_cmp_lt_i32 s87, 0                                        // 0000000085BC: BF048057
	s_cbranch_scc0 label_1C3E                                  // 0000000085C0: BF84034A
	s_waitcnt lgkmcnt(0)                                       // 0000000085C4: BF8CC07F
	s_barrier                                                  // 0000000085C8: BF8A0000
	v_lshlrev_b32_e32 v43, 1, v0                               // 0000000085CC: 24560081
	s_mul_i32 s56, s7, 0x410                                   // 0000000085D0: 9238FF07 00000410
	v_add_u32_e32 v43, s56, v43                                // 0000000085D8: 68565638
	v_lshlrev_b32_e32 v43, 2, v43                              // 0000000085DC: 24565682
	v_mov_b32_e32 v58, v90                                     // 0000000085E0: 7E74035A
	v_mov_b32_e32 v59, v94                                     // 0000000085E4: 7E76035E
	v_mov_b32_e32 v60, v98                                     // 0000000085E8: 7E780362
	v_mov_b32_e32 v61, v102                                    // 0000000085EC: 7E7A0366
	v_cmp_u_f32_e64 s[34:35], v58, v58                         // 0000000085F0: D0480022 0002753A
	v_add3_u32 v30, v58, v33, 1                                // 0000000085F8: D1FF001E 0206433A
	v_cndmask_b32_e64 v34, v30, v32, s[34:35]                  // 000000008600: D1000022 008A411E
	v_cmp_u_f32_e64 s[34:35], v59, v59                         // 000000008608: D0480022 0002773B
	v_add3_u32 v30, v59, v33, 1                                // 000000008610: D1FF001E 0206433B
	v_cndmask_b32_e64 v35, v30, v32, s[34:35]                  // 000000008618: D1000023 008A411E
	v_perm_b32 v58, v35, v34, s52                              // 000000008620: D1ED003A 00D24523
	v_cmp_u_f32_e64 s[34:35], v60, v60                         // 000000008628: D0480022 0002793C
	v_add3_u32 v30, v60, v33, 1                                // 000000008630: D1FF001E 0206433C
	v_cndmask_b32_e64 v34, v30, v32, s[34:35]                  // 000000008638: D1000022 008A411E
	v_cmp_u_f32_e64 s[34:35], v61, v61                         // 000000008640: D0480022 00027B3D
	v_add3_u32 v30, v61, v33, 1                                // 000000008648: D1FF001E 0206433D
	v_cndmask_b32_e64 v35, v30, v32, s[34:35]                  // 000000008650: D1000023 008A411E
	v_perm_b32 v59, v35, v34, s52                              // 000000008658: D1ED003B 00D24523
	ds_write_b64 v43, v[58:59]                                 // 000000008660: D89A0000 00003A2B
	v_mov_b32_e32 v58, v91                                     // 000000008668: 7E74035B
	v_mov_b32_e32 v59, v95                                     // 00000000866C: 7E76035F
	v_mov_b32_e32 v60, v99                                     // 000000008670: 7E780363
	v_mov_b32_e32 v61, v103                                    // 000000008674: 7E7A0367
	v_cmp_u_f32_e64 s[34:35], v58, v58                         // 000000008678: D0480022 0002753A
	v_add3_u32 v30, v58, v33, 1                                // 000000008680: D1FF001E 0206433A
	v_cndmask_b32_e64 v34, v30, v32, s[34:35]                  // 000000008688: D1000022 008A411E
	v_cmp_u_f32_e64 s[34:35], v59, v59                         // 000000008690: D0480022 0002773B
	v_add3_u32 v30, v59, v33, 1                                // 000000008698: D1FF001E 0206433B
	v_cndmask_b32_e64 v35, v30, v32, s[34:35]                  // 0000000086A0: D1000023 008A411E
	v_perm_b32 v58, v35, v34, s52                              // 0000000086A8: D1ED003A 00D24523
	v_cmp_u_f32_e64 s[34:35], v60, v60                         // 0000000086B0: D0480022 0002793C
	v_add3_u32 v30, v60, v33, 1                                // 0000000086B8: D1FF001E 0206433C
	v_cndmask_b32_e64 v34, v30, v32, s[34:35]                  // 0000000086C0: D1000022 008A411E
	v_cmp_u_f32_e64 s[34:35], v61, v61                         // 0000000086C8: D0480022 00027B3D
	v_add3_u32 v30, v61, v33, 1                                // 0000000086D0: D1FF001E 0206433D
	v_cndmask_b32_e64 v35, v30, v32, s[34:35]                  // 0000000086D8: D1000023 008A411E
	v_perm_b32 v59, v35, v34, s52                              // 0000000086E0: D1ED003B 00D24523
	ds_write_b64 v43, v[58:59] offset:520                      // 0000000086E8: D89A0208 00003A2B
	v_mov_b32_e32 v58, v92                                     // 0000000086F0: 7E74035C
	v_mov_b32_e32 v59, v96                                     // 0000000086F4: 7E760360
	v_mov_b32_e32 v60, v100                                    // 0000000086F8: 7E780364
	v_mov_b32_e32 v61, v104                                    // 0000000086FC: 7E7A0368
	v_cmp_u_f32_e64 s[34:35], v58, v58                         // 000000008700: D0480022 0002753A
	v_add3_u32 v30, v58, v33, 1                                // 000000008708: D1FF001E 0206433A
	v_cndmask_b32_e64 v34, v30, v32, s[34:35]                  // 000000008710: D1000022 008A411E
	v_cmp_u_f32_e64 s[34:35], v59, v59                         // 000000008718: D0480022 0002773B
	v_add3_u32 v30, v59, v33, 1                                // 000000008720: D1FF001E 0206433B
	v_cndmask_b32_e64 v35, v30, v32, s[34:35]                  // 000000008728: D1000023 008A411E
	v_perm_b32 v58, v35, v34, s52                              // 000000008730: D1ED003A 00D24523
	v_cmp_u_f32_e64 s[34:35], v60, v60                         // 000000008738: D0480022 0002793C
	v_add3_u32 v30, v60, v33, 1                                // 000000008740: D1FF001E 0206433C
	v_cndmask_b32_e64 v34, v30, v32, s[34:35]                  // 000000008748: D1000022 008A411E
	v_cmp_u_f32_e64 s[34:35], v61, v61                         // 000000008750: D0480022 00027B3D
	v_add3_u32 v30, v61, v33, 1                                // 000000008758: D1FF001E 0206433D
	v_cndmask_b32_e64 v35, v30, v32, s[34:35]                  // 000000008760: D1000023 008A411E
	v_perm_b32 v59, v35, v34, s52                              // 000000008768: D1ED003B 00D24523
	ds_write_b64 v43, v[58:59] offset:1040                     // 000000008770: D89A0410 00003A2B
	v_mov_b32_e32 v58, v93                                     // 000000008778: 7E74035D
	v_mov_b32_e32 v59, v97                                     // 00000000877C: 7E760361
	v_mov_b32_e32 v60, v101                                    // 000000008780: 7E780365
	v_mov_b32_e32 v61, v105                                    // 000000008784: 7E7A0369
	v_cmp_u_f32_e64 s[34:35], v58, v58                         // 000000008788: D0480022 0002753A
	v_add3_u32 v30, v58, v33, 1                                // 000000008790: D1FF001E 0206433A
	v_cndmask_b32_e64 v34, v30, v32, s[34:35]                  // 000000008798: D1000022 008A411E
	v_cmp_u_f32_e64 s[34:35], v59, v59                         // 0000000087A0: D0480022 0002773B
	v_add3_u32 v30, v59, v33, 1                                // 0000000087A8: D1FF001E 0206433B
	v_cndmask_b32_e64 v35, v30, v32, s[34:35]                  // 0000000087B0: D1000023 008A411E
	v_perm_b32 v58, v35, v34, s52                              // 0000000087B8: D1ED003A 00D24523
	v_cmp_u_f32_e64 s[34:35], v60, v60                         // 0000000087C0: D0480022 0002793C
	v_add3_u32 v30, v60, v33, 1                                // 0000000087C8: D1FF001E 0206433C
	v_cndmask_b32_e64 v34, v30, v32, s[34:35]                  // 0000000087D0: D1000022 008A411E
	v_cmp_u_f32_e64 s[34:35], v61, v61                         // 0000000087D8: D0480022 00027B3D
	v_add3_u32 v30, v61, v33, 1                                // 0000000087E0: D1FF001E 0206433D
	v_cndmask_b32_e64 v35, v30, v32, s[34:35]                  // 0000000087E8: D1000023 008A411E
	v_perm_b32 v59, v35, v34, s52                              // 0000000087F0: D1ED003B 00D24523
	ds_write_b64 v43, v[58:59] offset:1560                     // 0000000087F8: D89A0618 00003A2B
	v_mov_b32_e32 v58, v106                                    // 000000008800: 7E74036A
	v_mov_b32_e32 v59, v110                                    // 000000008804: 7E76036E
	v_mov_b32_e32 v60, v114                                    // 000000008808: 7E780372
	v_mov_b32_e32 v61, v118                                    // 00000000880C: 7E7A0376
	v_cmp_u_f32_e64 s[34:35], v58, v58                         // 000000008810: D0480022 0002753A
	v_add3_u32 v30, v58, v33, 1                                // 000000008818: D1FF001E 0206433A
	v_cndmask_b32_e64 v34, v30, v32, s[34:35]                  // 000000008820: D1000022 008A411E
	v_cmp_u_f32_e64 s[34:35], v59, v59                         // 000000008828: D0480022 0002773B
	v_add3_u32 v30, v59, v33, 1                                // 000000008830: D1FF001E 0206433B
	v_cndmask_b32_e64 v35, v30, v32, s[34:35]                  // 000000008838: D1000023 008A411E
	v_perm_b32 v58, v35, v34, s52                              // 000000008840: D1ED003A 00D24523
	v_cmp_u_f32_e64 s[34:35], v60, v60                         // 000000008848: D0480022 0002793C
	v_add3_u32 v30, v60, v33, 1                                // 000000008850: D1FF001E 0206433C
	v_cndmask_b32_e64 v34, v30, v32, s[34:35]                  // 000000008858: D1000022 008A411E
	v_cmp_u_f32_e64 s[34:35], v61, v61                         // 000000008860: D0480022 00027B3D
	v_add3_u32 v30, v61, v33, 1                                // 000000008868: D1FF001E 0206433D
	v_cndmask_b32_e64 v35, v30, v32, s[34:35]                  // 000000008870: D1000023 008A411E
	v_perm_b32 v59, v35, v34, s52                              // 000000008878: D1ED003B 00D24523
	ds_write_b64 v43, v[58:59] offset:2080                     // 000000008880: D89A0820 00003A2B
	v_mov_b32_e32 v58, v107                                    // 000000008888: 7E74036B
	v_mov_b32_e32 v59, v111                                    // 00000000888C: 7E76036F
	v_mov_b32_e32 v60, v115                                    // 000000008890: 7E780373
	v_mov_b32_e32 v61, v119                                    // 000000008894: 7E7A0377
	v_cmp_u_f32_e64 s[34:35], v58, v58                         // 000000008898: D0480022 0002753A
	v_add3_u32 v30, v58, v33, 1                                // 0000000088A0: D1FF001E 0206433A
	v_cndmask_b32_e64 v34, v30, v32, s[34:35]                  // 0000000088A8: D1000022 008A411E
	v_cmp_u_f32_e64 s[34:35], v59, v59                         // 0000000088B0: D0480022 0002773B
	v_add3_u32 v30, v59, v33, 1                                // 0000000088B8: D1FF001E 0206433B
	v_cndmask_b32_e64 v35, v30, v32, s[34:35]                  // 0000000088C0: D1000023 008A411E
	v_perm_b32 v58, v35, v34, s52                              // 0000000088C8: D1ED003A 00D24523
	v_cmp_u_f32_e64 s[34:35], v60, v60                         // 0000000088D0: D0480022 0002793C
	v_add3_u32 v30, v60, v33, 1                                // 0000000088D8: D1FF001E 0206433C
	v_cndmask_b32_e64 v34, v30, v32, s[34:35]                  // 0000000088E0: D1000022 008A411E
	v_cmp_u_f32_e64 s[34:35], v61, v61                         // 0000000088E8: D0480022 00027B3D
	v_add3_u32 v30, v61, v33, 1                                // 0000000088F0: D1FF001E 0206433D
	v_cndmask_b32_e64 v35, v30, v32, s[34:35]                  // 0000000088F8: D1000023 008A411E
	v_perm_b32 v59, v35, v34, s52                              // 000000008900: D1ED003B 00D24523
	ds_write_b64 v43, v[58:59] offset:2600                     // 000000008908: D89A0A28 00003A2B
	v_mov_b32_e32 v58, v108                                    // 000000008910: 7E74036C
	v_mov_b32_e32 v59, v112                                    // 000000008914: 7E760370
	v_mov_b32_e32 v60, v116                                    // 000000008918: 7E780374
	v_mov_b32_e32 v61, v120                                    // 00000000891C: 7E7A0378
	v_cmp_u_f32_e64 s[34:35], v58, v58                         // 000000008920: D0480022 0002753A
	v_add3_u32 v30, v58, v33, 1                                // 000000008928: D1FF001E 0206433A
	v_cndmask_b32_e64 v34, v30, v32, s[34:35]                  // 000000008930: D1000022 008A411E
	v_cmp_u_f32_e64 s[34:35], v59, v59                         // 000000008938: D0480022 0002773B
	v_add3_u32 v30, v59, v33, 1                                // 000000008940: D1FF001E 0206433B
	v_cndmask_b32_e64 v35, v30, v32, s[34:35]                  // 000000008948: D1000023 008A411E
	v_perm_b32 v58, v35, v34, s52                              // 000000008950: D1ED003A 00D24523
	v_cmp_u_f32_e64 s[34:35], v60, v60                         // 000000008958: D0480022 0002793C
	v_add3_u32 v30, v60, v33, 1                                // 000000008960: D1FF001E 0206433C
	v_cndmask_b32_e64 v34, v30, v32, s[34:35]                  // 000000008968: D1000022 008A411E
	v_cmp_u_f32_e64 s[34:35], v61, v61                         // 000000008970: D0480022 00027B3D
	v_add3_u32 v30, v61, v33, 1                                // 000000008978: D1FF001E 0206433D
	v_cndmask_b32_e64 v35, v30, v32, s[34:35]                  // 000000008980: D1000023 008A411E
	v_perm_b32 v59, v35, v34, s52                              // 000000008988: D1ED003B 00D24523
	ds_write_b64 v43, v[58:59] offset:3120                     // 000000008990: D89A0C30 00003A2B
	v_mov_b32_e32 v58, v109                                    // 000000008998: 7E74036D
	v_mov_b32_e32 v59, v113                                    // 00000000899C: 7E760371
	v_mov_b32_e32 v60, v117                                    // 0000000089A0: 7E780375
	v_mov_b32_e32 v61, v121                                    // 0000000089A4: 7E7A0379
	v_cmp_u_f32_e64 s[34:35], v58, v58                         // 0000000089A8: D0480022 0002753A
	v_add3_u32 v30, v58, v33, 1                                // 0000000089B0: D1FF001E 0206433A
	v_cndmask_b32_e64 v34, v30, v32, s[34:35]                  // 0000000089B8: D1000022 008A411E
	v_cmp_u_f32_e64 s[34:35], v59, v59                         // 0000000089C0: D0480022 0002773B
	v_add3_u32 v30, v59, v33, 1                                // 0000000089C8: D1FF001E 0206433B
	v_cndmask_b32_e64 v35, v30, v32, s[34:35]                  // 0000000089D0: D1000023 008A411E
	v_perm_b32 v58, v35, v34, s52                              // 0000000089D8: D1ED003A 00D24523
	v_cmp_u_f32_e64 s[34:35], v60, v60                         // 0000000089E0: D0480022 0002793C
	v_add3_u32 v30, v60, v33, 1                                // 0000000089E8: D1FF001E 0206433C
	v_cndmask_b32_e64 v34, v30, v32, s[34:35]                  // 0000000089F0: D1000022 008A411E
	v_cmp_u_f32_e64 s[34:35], v61, v61                         // 0000000089F8: D0480022 00027B3D
	v_add3_u32 v30, v61, v33, 1                                // 000000008A00: D1FF001E 0206433D
	v_cndmask_b32_e64 v35, v30, v32, s[34:35]                  // 000000008A08: D1000023 008A411E
	v_perm_b32 v59, v35, v34, s52                              // 000000008A10: D1ED003B 00D24523
	ds_write_b64 v43, v[58:59] offset:3640                     // 000000008A18: D89A0E38 00003A2B
	v_mov_b32_e32 v34, 0                                       // 000000008A20: 7E440280
	v_mov_b32_e32 v35, 4                                       // 000000008A24: 7E460284
	s_mov_b32 s56, 0xffff0000                                  // 000000008A28: BEB800FF FFFF0000
	s_mov_b32 s57, 0xffff0000                                  // 000000008A30: BEB900FF FFFF0000
	v_cndmask_b32_e64 v36, v34, v35, s[56:57]                  // 000000008A38: D1000024 00E24722
	v_and_b32_e32 v34, 3, v0                                   // 000000008A40: 26440083
	v_add_u32_e32 v34, v34, v36                                // 000000008A44: 68444922
	s_mov_b32 s56, 0x82                                        // 000000008A48: BEB800FF 00000082
	v_mul_i32_i24_e32 v34, s56, v34                            // 000000008A50: 0C444438
	v_and_b32_e32 v35, 15, v0                                  // 000000008A54: 2646008F
	v_lshrrev_b32_e32 v35, 2, v35                              // 000000008A58: 20464682
	s_mov_b32 s56, 32                                          // 000000008A5C: BEB800A0
	v_mul_i32_i24_e32 v35, s56, v35                            // 000000008A60: 0C464638
	v_lshrrev_b32_e32 v36, 5, v0                               // 000000008A64: 20480085
	v_lshlrev_b32_e32 v36, 1, v36                              // 000000008A68: 24484881
	v_add_u32_e32 v43, v34, v35                                // 000000008A6C: 68564722
	v_add_u32_e32 v43, v43, v36                                // 000000008A70: 6856492B
	s_mul_i32 s56, s7, 0x410                                   // 000000008A74: 9238FF07 00000410
	v_add_u32_e32 v43, s56, v43                                // 000000008A7C: 68565638
	v_lshlrev_b32_e32 v43, 2, v43                              // 000000008A80: 24565682
	s_waitcnt lgkmcnt(0)                                       // 000000008A84: BF8CC07F
	ds_read_b64 v[90:91], v43                                  // 000000008A88: D8EC0000 5A00002B
	ds_read_b64 v[92:93], v43 offset:16                        // 000000008A90: D8EC0010 5C00002B
	ds_read_b64 v[94:95], v43 offset:32                        // 000000008A98: D8EC0020 5E00002B
	ds_read_b64 v[96:97], v43 offset:48                        // 000000008AA0: D8EC0030 6000002B
	ds_read_b64 v[98:99], v43 offset:64                        // 000000008AA8: D8EC0040 6200002B
	ds_read_b64 v[100:101], v43 offset:80                      // 000000008AB0: D8EC0050 6400002B
	ds_read_b64 v[102:103], v43 offset:96                      // 000000008AB8: D8EC0060 6600002B
	ds_read_b64 v[104:105], v43 offset:112                     // 000000008AC0: D8EC0070 6800002B
	s_mul_i32 s75, 0x400, 16                                   // 000000008AC8: 924B90FF 00000400
	s_mul_i32 s56, s78, s75                                    // 000000008AD0: 92384B4E
	s_add_u32 s88, s56, s88                                    // 000000008AD4: 80585838
	s_addc_u32 s89, 0, s89                                     // 000000008AD8: 82595980
	s_mul_i32 s56, s81, s75                                    // 000000008ADC: 92384B51
	s_mov_b32 s90, s56                                         // 000000008AE0: BEDA0038
	s_mul_i32 s56, s7, 0x100                                   // 000000008AE4: 9238FF07 00000100
	v_lshrrev_b32_e32 v34, 5, v0                               // 000000008AEC: 20440085
	s_mov_b32 s57, 0x400                                       // 000000008AF0: BEB900FF 00000400
	v_mul_i32_i24_e32 v34, s57, v34                            // 000000008AF8: 0C444439
	v_and_b32_e32 v19, 31, v0                                  // 000000008AFC: 2626009F
	v_lshlrev_b32_e32 v19, 3, v19                              // 000000008B00: 24262683
	v_add_u32_e32 v19, v19, v34                                // 000000008B04: 68264513
	v_add_u32_e64 v19, v19, s56                                // 000000008B08: D1340013 00007113
	v_mov_b32_e32 v51, v19                                     // 000000008B10: 7E660313
	v_mov_b32_e32 v19, v51                                     // 000000008B14: 7E260333
	s_waitcnt lgkmcnt(7)                                       // 000000008B18: BF8CC77F
	buffer_store_dwordx2 v[90:91], v19, s[88:91], 0 offen      // 000000008B1C: E0741000 80165A13
	v_add_u32_e32 v19, 0x800, v19                              // 000000008B24: 682626FF 00000800
	s_waitcnt lgkmcnt(6)                                       // 000000008B2C: BF8CC67F
	buffer_store_dwordx2 v[92:93], v19, s[88:91], 0 offen      // 000000008B30: E0741000 80165C13
	v_add_u32_e32 v19, 0x800, v19                              // 000000008B38: 682626FF 00000800
	s_waitcnt lgkmcnt(5)                                       // 000000008B40: BF8CC57F
	buffer_store_dwordx2 v[94:95], v19, s[88:91], 0 offen      // 000000008B44: E0741000 80165E13
	v_add_u32_e32 v19, 0x800, v19                              // 000000008B4C: 682626FF 00000800
	s_waitcnt lgkmcnt(4)                                       // 000000008B54: BF8CC47F
	buffer_store_dwordx2 v[96:97], v19, s[88:91], 0 offen      // 000000008B58: E0741000 80166013
	v_add_u32_e32 v19, 0x800, v19                              // 000000008B60: 682626FF 00000800
	s_waitcnt lgkmcnt(3)                                       // 000000008B68: BF8CC37F
	buffer_store_dwordx2 v[98:99], v19, s[88:91], 0 offen      // 000000008B6C: E0741000 80166213
	v_add_u32_e32 v19, 0x800, v19                              // 000000008B74: 682626FF 00000800
	s_waitcnt lgkmcnt(2)                                       // 000000008B7C: BF8CC27F
	buffer_store_dwordx2 v[100:101], v19, s[88:91], 0 offen    // 000000008B80: E0741000 80166413
	v_add_u32_e32 v19, 0x800, v19                              // 000000008B88: 682626FF 00000800
	s_waitcnt lgkmcnt(1)                                       // 000000008B90: BF8CC17F
	buffer_store_dwordx2 v[102:103], v19, s[88:91], 0 offen    // 000000008B94: E0741000 80166613
	v_add_u32_e32 v19, 0x800, v19                              // 000000008B9C: 682626FF 00000800
	s_waitcnt lgkmcnt(0)                                       // 000000008BA4: BF8CC07F
	buffer_store_dwordx2 v[104:105], v19, s[88:91], 0 offen    // 000000008BA8: E0741000 80166813
	v_add_u32_e32 v19, 0x800, v19                              // 000000008BB0: 682626FF 00000800
	s_mov_b32 s56, s75                                         // 000000008BB8: BEB8004B
	s_add_u32 s88, s56, s88                                    // 000000008BBC: 80585838
	s_addc_u32 s89, 0, s89                                     // 000000008BC0: 82595980
	ds_write_b32 v5, v16 offset:21120                          // 000000008BC4: D81A5280 00001005
	s_waitcnt lgkmcnt(0)                                       // 000000008BCC: BF8CC07F
	s_barrier                                                  // 000000008BD0: BF8A0000
	ds_read_b32 v58, v4 offset:21120                           // 000000008BD4: D86C5280 3A000004
	ds_read_b32 v59, v4 offset:21184                           // 000000008BDC: D86C52C0 3B000004
	ds_read_b32 v60, v4 offset:21248                           // 000000008BE4: D86C5300 3C000004
	ds_read_b32 v61, v4 offset:21312                           // 000000008BEC: D86C5340 3D000004
	ds_read_b32 v62, v4 offset:21376                           // 000000008BF4: D86C5380 3E000004
	ds_read_b32 v63, v4 offset:21440                           // 000000008BFC: D86C53C0 3F000004
	ds_read_b32 v64, v4 offset:21504                           // 000000008C04: D86C5400 40000004
	ds_read_b32 v65, v4 offset:21568                           // 000000008C0C: D86C5440 41000004
	ds_read_b32 v66, v4 offset:21632                           // 000000008C14: D86C5480 42000004
	ds_read_b32 v67, v4 offset:21696                           // 000000008C1C: D86C54C0 43000004
	ds_read_b32 v68, v4 offset:21760                           // 000000008C24: D86C5500 44000004
	ds_read_b32 v69, v4 offset:21824                           // 000000008C2C: D86C5540 45000004
	ds_read_b32 v70, v4 offset:21888                           // 000000008C34: D86C5580 46000004
	ds_read_b32 v71, v4 offset:21952                           // 000000008C3C: D86C55C0 47000004
	ds_read_b32 v72, v4 offset:22016                           // 000000008C44: D86C5600 48000004
	ds_read_b32 v73, v4 offset:22080                           // 000000008C4C: D86C5640 49000004
	s_waitcnt lgkmcnt(0)                                       // 000000008C54: BF8CC07F
	v_mov_b32_e32 v16, 0                                       // 000000008C58: 7E200280
	v_add_f32_e32 v16, v58, v16                                // 000000008C5C: 0220213A
	v_add_f32_e32 v16, v59, v16                                // 000000008C60: 0220213B
	v_add_f32_e32 v16, v60, v16                                // 000000008C64: 0220213C
	v_add_f32_e32 v16, v61, v16                                // 000000008C68: 0220213D
	v_add_f32_e32 v16, v62, v16                                // 000000008C6C: 0220213E
	v_add_f32_e32 v16, v63, v16                                // 000000008C70: 0220213F
	v_add_f32_e32 v16, v64, v16                                // 000000008C74: 02202140
	v_add_f32_e32 v16, v65, v16                                // 000000008C78: 02202141
	v_add_f32_e32 v16, v66, v16                                // 000000008C7C: 02202142
	v_add_f32_e32 v16, v67, v16                                // 000000008C80: 02202143
	v_add_f32_e32 v16, v68, v16                                // 000000008C84: 02202144
	v_add_f32_e32 v16, v69, v16                                // 000000008C88: 02202145
	v_add_f32_e32 v16, v70, v16                                // 000000008C8C: 02202146
	v_add_f32_e32 v16, v71, v16                                // 000000008C90: 02202147
	v_add_f32_e32 v16, v72, v16                                // 000000008C94: 02202148
	v_add_f32_e32 v16, v73, v16                                // 000000008C98: 02202149
	v_mul_f32_e64 v34, v13, s64                                // 000000008C9C: D1050022 0000810D
	v_log_f32_e32 v35, v16                                     // 000000008CA4: 7E464310
	s_nop 1                                                    // 000000008CA8: BF800001
	v_rcp_f32_e32 v16, v16                                     // 000000008CAC: 7E204510
	s_nop 1                                                    // 000000008CB0: BF800001
	v_fma_f32 v45, v35, s63, v34                               // 000000008CB4: D1CB002D 04887F23
	v_mul_f32_e32 v16, s43, v16                                // 000000008CBC: 0A20202B
	v_mul_f32_e32 v122, v16, v122                              // 000000008CC0: 0AF4F510
	v_mul_f32_e32 v123, v16, v123                              // 000000008CC4: 0AF6F710
	v_mul_f32_e32 v124, v16, v124                              // 000000008CC8: 0AF8F910
	v_mul_f32_e32 v125, v16, v125                              // 000000008CCC: 0AFAFB10
	v_mul_f32_e32 v126, v16, v126                              // 000000008CD0: 0AFCFD10
	v_mul_f32_e32 v127, v16, v127                              // 000000008CD4: 0AFEFF10
	v_mul_f32_e32 v128, v16, v128                              // 000000008CD8: 0B010110
	v_mul_f32_e32 v129, v16, v129                              // 000000008CDC: 0B030310
	v_mul_f32_e32 v130, v16, v130                              // 000000008CE0: 0B050510
	v_mul_f32_e32 v131, v16, v131                              // 000000008CE4: 0B070710
	v_mul_f32_e32 v132, v16, v132                              // 000000008CE8: 0B090910
	v_mul_f32_e32 v133, v16, v133                              // 000000008CEC: 0B0B0B10
	v_mul_f32_e32 v134, v16, v134                              // 000000008CF0: 0B0D0D10
	v_mul_f32_e32 v135, v16, v135                              // 000000008CF4: 0B0F0F10
	v_mul_f32_e32 v136, v16, v136                              // 000000008CF8: 0B111110
	v_mul_f32_e32 v137, v16, v137                              // 000000008CFC: 0B131310
	v_mul_f32_e32 v138, v16, v138                              // 000000008D00: 0B151510
	v_mul_f32_e32 v139, v16, v139                              // 000000008D04: 0B171710
	v_mul_f32_e32 v140, v16, v140                              // 000000008D08: 0B191910
	v_mul_f32_e32 v141, v16, v141                              // 000000008D0C: 0B1B1B10
	v_mul_f32_e32 v142, v16, v142                              // 000000008D10: 0B1D1D10
	v_mul_f32_e32 v143, v16, v143                              // 000000008D14: 0B1F1F10
	v_mul_f32_e32 v144, v16, v144                              // 000000008D18: 0B212110
	v_mul_f32_e32 v145, v16, v145                              // 000000008D1C: 0B232310
	v_mul_f32_e32 v146, v16, v146                              // 000000008D20: 0B252510
	v_mul_f32_e32 v147, v16, v147                              // 000000008D24: 0B272710
	v_mul_f32_e32 v148, v16, v148                              // 000000008D28: 0B292910
	v_mul_f32_e32 v149, v16, v149                              // 000000008D2C: 0B2B2B10
	v_mul_f32_e32 v150, v16, v150                              // 000000008D30: 0B2D2D10
	v_mul_f32_e32 v151, v16, v151                              // 000000008D34: 0B2F2F10
	v_mul_f32_e32 v152, v16, v152                              // 000000008D38: 0B313110
	v_mul_f32_e32 v153, v16, v153                              // 000000008D3C: 0B333310
	s_waitcnt lgkmcnt(0)                                       // 000000008D40: BF8CC07F
	s_barrier                                                  // 000000008D44: BF8A0000
	v_lshlrev_b32_e32 v43, 1, v0                               // 000000008D48: 24560081
	s_mul_i32 s56, s7, 0x410                                   // 000000008D4C: 9238FF07 00000410
	v_add_u32_e32 v43, s56, v43                                // 000000008D54: 68565638
	v_lshlrev_b32_e32 v43, 2, v43                              // 000000008D58: 24565682
	v_mov_b32_e32 v58, v122                                    // 000000008D5C: 7E74037A
	v_mov_b32_e32 v59, v126                                    // 000000008D60: 7E76037E
	v_mov_b32_e32 v60, v130                                    // 000000008D64: 7E780382
	v_mov_b32_e32 v61, v134                                    // 000000008D68: 7E7A0386
	v_cmp_u_f32_e64 s[34:35], v58, v58                         // 000000008D6C: D0480022 0002753A
	v_add3_u32 v30, v58, v33, 1                                // 000000008D74: D1FF001E 0206433A
	v_cndmask_b32_e64 v34, v30, v32, s[34:35]                  // 000000008D7C: D1000022 008A411E
	v_cmp_u_f32_e64 s[34:35], v59, v59                         // 000000008D84: D0480022 0002773B
	v_add3_u32 v30, v59, v33, 1                                // 000000008D8C: D1FF001E 0206433B
	v_cndmask_b32_e64 v35, v30, v32, s[34:35]                  // 000000008D94: D1000023 008A411E
	v_perm_b32 v58, v35, v34, s52                              // 000000008D9C: D1ED003A 00D24523
	v_cmp_u_f32_e64 s[34:35], v60, v60                         // 000000008DA4: D0480022 0002793C
	v_add3_u32 v30, v60, v33, 1                                // 000000008DAC: D1FF001E 0206433C
	v_cndmask_b32_e64 v34, v30, v32, s[34:35]                  // 000000008DB4: D1000022 008A411E
	v_cmp_u_f32_e64 s[34:35], v61, v61                         // 000000008DBC: D0480022 00027B3D
	v_add3_u32 v30, v61, v33, 1                                // 000000008DC4: D1FF001E 0206433D
	v_cndmask_b32_e64 v35, v30, v32, s[34:35]                  // 000000008DCC: D1000023 008A411E
	v_perm_b32 v59, v35, v34, s52                              // 000000008DD4: D1ED003B 00D24523
	ds_write_b64 v43, v[58:59]                                 // 000000008DDC: D89A0000 00003A2B
	v_mov_b32_e32 v58, v123                                    // 000000008DE4: 7E74037B
	v_mov_b32_e32 v59, v127                                    // 000000008DE8: 7E76037F
	v_mov_b32_e32 v60, v131                                    // 000000008DEC: 7E780383
	v_mov_b32_e32 v61, v135                                    // 000000008DF0: 7E7A0387
	v_cmp_u_f32_e64 s[34:35], v58, v58                         // 000000008DF4: D0480022 0002753A
	v_add3_u32 v30, v58, v33, 1                                // 000000008DFC: D1FF001E 0206433A
	v_cndmask_b32_e64 v34, v30, v32, s[34:35]                  // 000000008E04: D1000022 008A411E
	v_cmp_u_f32_e64 s[34:35], v59, v59                         // 000000008E0C: D0480022 0002773B
	v_add3_u32 v30, v59, v33, 1                                // 000000008E14: D1FF001E 0206433B
	v_cndmask_b32_e64 v35, v30, v32, s[34:35]                  // 000000008E1C: D1000023 008A411E
	v_perm_b32 v58, v35, v34, s52                              // 000000008E24: D1ED003A 00D24523
	v_cmp_u_f32_e64 s[34:35], v60, v60                         // 000000008E2C: D0480022 0002793C
	v_add3_u32 v30, v60, v33, 1                                // 000000008E34: D1FF001E 0206433C
	v_cndmask_b32_e64 v34, v30, v32, s[34:35]                  // 000000008E3C: D1000022 008A411E
	v_cmp_u_f32_e64 s[34:35], v61, v61                         // 000000008E44: D0480022 00027B3D
	v_add3_u32 v30, v61, v33, 1                                // 000000008E4C: D1FF001E 0206433D
	v_cndmask_b32_e64 v35, v30, v32, s[34:35]                  // 000000008E54: D1000023 008A411E
	v_perm_b32 v59, v35, v34, s52                              // 000000008E5C: D1ED003B 00D24523
	ds_write_b64 v43, v[58:59] offset:520                      // 000000008E64: D89A0208 00003A2B
	v_mov_b32_e32 v58, v124                                    // 000000008E6C: 7E74037C
	v_mov_b32_e32 v59, v128                                    // 000000008E70: 7E760380
	v_mov_b32_e32 v60, v132                                    // 000000008E74: 7E780384
	v_mov_b32_e32 v61, v136                                    // 000000008E78: 7E7A0388
	v_cmp_u_f32_e64 s[34:35], v58, v58                         // 000000008E7C: D0480022 0002753A
	v_add3_u32 v30, v58, v33, 1                                // 000000008E84: D1FF001E 0206433A
	v_cndmask_b32_e64 v34, v30, v32, s[34:35]                  // 000000008E8C: D1000022 008A411E
	v_cmp_u_f32_e64 s[34:35], v59, v59                         // 000000008E94: D0480022 0002773B
	v_add3_u32 v30, v59, v33, 1                                // 000000008E9C: D1FF001E 0206433B
	v_cndmask_b32_e64 v35, v30, v32, s[34:35]                  // 000000008EA4: D1000023 008A411E
	v_perm_b32 v58, v35, v34, s52                              // 000000008EAC: D1ED003A 00D24523
	v_cmp_u_f32_e64 s[34:35], v60, v60                         // 000000008EB4: D0480022 0002793C
	v_add3_u32 v30, v60, v33, 1                                // 000000008EBC: D1FF001E 0206433C
	v_cndmask_b32_e64 v34, v30, v32, s[34:35]                  // 000000008EC4: D1000022 008A411E
	v_cmp_u_f32_e64 s[34:35], v61, v61                         // 000000008ECC: D0480022 00027B3D
	v_add3_u32 v30, v61, v33, 1                                // 000000008ED4: D1FF001E 0206433D
	v_cndmask_b32_e64 v35, v30, v32, s[34:35]                  // 000000008EDC: D1000023 008A411E
	v_perm_b32 v59, v35, v34, s52                              // 000000008EE4: D1ED003B 00D24523
	ds_write_b64 v43, v[58:59] offset:1040                     // 000000008EEC: D89A0410 00003A2B
	v_mov_b32_e32 v58, v125                                    // 000000008EF4: 7E74037D
	v_mov_b32_e32 v59, v129                                    // 000000008EF8: 7E760381
	v_mov_b32_e32 v60, v133                                    // 000000008EFC: 7E780385
	v_mov_b32_e32 v61, v137                                    // 000000008F00: 7E7A0389
	v_cmp_u_f32_e64 s[34:35], v58, v58                         // 000000008F04: D0480022 0002753A
	v_add3_u32 v30, v58, v33, 1                                // 000000008F0C: D1FF001E 0206433A
	v_cndmask_b32_e64 v34, v30, v32, s[34:35]                  // 000000008F14: D1000022 008A411E
	v_cmp_u_f32_e64 s[34:35], v59, v59                         // 000000008F1C: D0480022 0002773B
	v_add3_u32 v30, v59, v33, 1                                // 000000008F24: D1FF001E 0206433B
	v_cndmask_b32_e64 v35, v30, v32, s[34:35]                  // 000000008F2C: D1000023 008A411E
	v_perm_b32 v58, v35, v34, s52                              // 000000008F34: D1ED003A 00D24523
	v_cmp_u_f32_e64 s[34:35], v60, v60                         // 000000008F3C: D0480022 0002793C
	v_add3_u32 v30, v60, v33, 1                                // 000000008F44: D1FF001E 0206433C
	v_cndmask_b32_e64 v34, v30, v32, s[34:35]                  // 000000008F4C: D1000022 008A411E
	v_cmp_u_f32_e64 s[34:35], v61, v61                         // 000000008F54: D0480022 00027B3D
	v_add3_u32 v30, v61, v33, 1                                // 000000008F5C: D1FF001E 0206433D
	v_cndmask_b32_e64 v35, v30, v32, s[34:35]                  // 000000008F64: D1000023 008A411E
	v_perm_b32 v59, v35, v34, s52                              // 000000008F6C: D1ED003B 00D24523
	ds_write_b64 v43, v[58:59] offset:1560                     // 000000008F74: D89A0618 00003A2B
	v_mov_b32_e32 v58, v138                                    // 000000008F7C: 7E74038A
	v_mov_b32_e32 v59, v142                                    // 000000008F80: 7E76038E
	v_mov_b32_e32 v60, v146                                    // 000000008F84: 7E780392
	v_mov_b32_e32 v61, v150                                    // 000000008F88: 7E7A0396
	v_cmp_u_f32_e64 s[34:35], v58, v58                         // 000000008F8C: D0480022 0002753A
	v_add3_u32 v30, v58, v33, 1                                // 000000008F94: D1FF001E 0206433A
	v_cndmask_b32_e64 v34, v30, v32, s[34:35]                  // 000000008F9C: D1000022 008A411E
	v_cmp_u_f32_e64 s[34:35], v59, v59                         // 000000008FA4: D0480022 0002773B
	v_add3_u32 v30, v59, v33, 1                                // 000000008FAC: D1FF001E 0206433B
	v_cndmask_b32_e64 v35, v30, v32, s[34:35]                  // 000000008FB4: D1000023 008A411E
	v_perm_b32 v58, v35, v34, s52                              // 000000008FBC: D1ED003A 00D24523
	v_cmp_u_f32_e64 s[34:35], v60, v60                         // 000000008FC4: D0480022 0002793C
	v_add3_u32 v30, v60, v33, 1                                // 000000008FCC: D1FF001E 0206433C
	v_cndmask_b32_e64 v34, v30, v32, s[34:35]                  // 000000008FD4: D1000022 008A411E
	v_cmp_u_f32_e64 s[34:35], v61, v61                         // 000000008FDC: D0480022 00027B3D
	v_add3_u32 v30, v61, v33, 1                                // 000000008FE4: D1FF001E 0206433D
	v_cndmask_b32_e64 v35, v30, v32, s[34:35]                  // 000000008FEC: D1000023 008A411E
	v_perm_b32 v59, v35, v34, s52                              // 000000008FF4: D1ED003B 00D24523
	ds_write_b64 v43, v[58:59] offset:2080                     // 000000008FFC: D89A0820 00003A2B
	v_mov_b32_e32 v58, v139                                    // 000000009004: 7E74038B
	v_mov_b32_e32 v59, v143                                    // 000000009008: 7E76038F
	v_mov_b32_e32 v60, v147                                    // 00000000900C: 7E780393
	v_mov_b32_e32 v61, v151                                    // 000000009010: 7E7A0397
	v_cmp_u_f32_e64 s[34:35], v58, v58                         // 000000009014: D0480022 0002753A
	v_add3_u32 v30, v58, v33, 1                                // 00000000901C: D1FF001E 0206433A
	v_cndmask_b32_e64 v34, v30, v32, s[34:35]                  // 000000009024: D1000022 008A411E
	v_cmp_u_f32_e64 s[34:35], v59, v59                         // 00000000902C: D0480022 0002773B
	v_add3_u32 v30, v59, v33, 1                                // 000000009034: D1FF001E 0206433B
	v_cndmask_b32_e64 v35, v30, v32, s[34:35]                  // 00000000903C: D1000023 008A411E
	v_perm_b32 v58, v35, v34, s52                              // 000000009044: D1ED003A 00D24523
	v_cmp_u_f32_e64 s[34:35], v60, v60                         // 00000000904C: D0480022 0002793C
	v_add3_u32 v30, v60, v33, 1                                // 000000009054: D1FF001E 0206433C
	v_cndmask_b32_e64 v34, v30, v32, s[34:35]                  // 00000000905C: D1000022 008A411E
	v_cmp_u_f32_e64 s[34:35], v61, v61                         // 000000009064: D0480022 00027B3D
	v_add3_u32 v30, v61, v33, 1                                // 00000000906C: D1FF001E 0206433D
	v_cndmask_b32_e64 v35, v30, v32, s[34:35]                  // 000000009074: D1000023 008A411E
	v_perm_b32 v59, v35, v34, s52                              // 00000000907C: D1ED003B 00D24523
	ds_write_b64 v43, v[58:59] offset:2600                     // 000000009084: D89A0A28 00003A2B
	v_mov_b32_e32 v58, v140                                    // 00000000908C: 7E74038C
	v_mov_b32_e32 v59, v144                                    // 000000009090: 7E760390
	v_mov_b32_e32 v60, v148                                    // 000000009094: 7E780394
	v_mov_b32_e32 v61, v152                                    // 000000009098: 7E7A0398
	v_cmp_u_f32_e64 s[34:35], v58, v58                         // 00000000909C: D0480022 0002753A
	v_add3_u32 v30, v58, v33, 1                                // 0000000090A4: D1FF001E 0206433A
	v_cndmask_b32_e64 v34, v30, v32, s[34:35]                  // 0000000090AC: D1000022 008A411E
	v_cmp_u_f32_e64 s[34:35], v59, v59                         // 0000000090B4: D0480022 0002773B
	v_add3_u32 v30, v59, v33, 1                                // 0000000090BC: D1FF001E 0206433B
	v_cndmask_b32_e64 v35, v30, v32, s[34:35]                  // 0000000090C4: D1000023 008A411E
	v_perm_b32 v58, v35, v34, s52                              // 0000000090CC: D1ED003A 00D24523
	v_cmp_u_f32_e64 s[34:35], v60, v60                         // 0000000090D4: D0480022 0002793C
	v_add3_u32 v30, v60, v33, 1                                // 0000000090DC: D1FF001E 0206433C
	v_cndmask_b32_e64 v34, v30, v32, s[34:35]                  // 0000000090E4: D1000022 008A411E
	v_cmp_u_f32_e64 s[34:35], v61, v61                         // 0000000090EC: D0480022 00027B3D
	v_add3_u32 v30, v61, v33, 1                                // 0000000090F4: D1FF001E 0206433D
	v_cndmask_b32_e64 v35, v30, v32, s[34:35]                  // 0000000090FC: D1000023 008A411E
	v_perm_b32 v59, v35, v34, s52                              // 000000009104: D1ED003B 00D24523
	ds_write_b64 v43, v[58:59] offset:3120                     // 00000000910C: D89A0C30 00003A2B
	v_mov_b32_e32 v58, v141                                    // 000000009114: 7E74038D
	v_mov_b32_e32 v59, v145                                    // 000000009118: 7E760391
	v_mov_b32_e32 v60, v149                                    // 00000000911C: 7E780395
	v_mov_b32_e32 v61, v153                                    // 000000009120: 7E7A0399
	v_cmp_u_f32_e64 s[34:35], v58, v58                         // 000000009124: D0480022 0002753A
	v_add3_u32 v30, v58, v33, 1                                // 00000000912C: D1FF001E 0206433A
	v_cndmask_b32_e64 v34, v30, v32, s[34:35]                  // 000000009134: D1000022 008A411E
	v_cmp_u_f32_e64 s[34:35], v59, v59                         // 00000000913C: D0480022 0002773B
	v_add3_u32 v30, v59, v33, 1                                // 000000009144: D1FF001E 0206433B
	v_cndmask_b32_e64 v35, v30, v32, s[34:35]                  // 00000000914C: D1000023 008A411E
	v_perm_b32 v58, v35, v34, s52                              // 000000009154: D1ED003A 00D24523
	v_cmp_u_f32_e64 s[34:35], v60, v60                         // 00000000915C: D0480022 0002793C
	v_add3_u32 v30, v60, v33, 1                                // 000000009164: D1FF001E 0206433C
	v_cndmask_b32_e64 v34, v30, v32, s[34:35]                  // 00000000916C: D1000022 008A411E
	v_cmp_u_f32_e64 s[34:35], v61, v61                         // 000000009174: D0480022 00027B3D
	v_add3_u32 v30, v61, v33, 1                                // 00000000917C: D1FF001E 0206433D
	v_cndmask_b32_e64 v35, v30, v32, s[34:35]                  // 000000009184: D1000023 008A411E
	v_perm_b32 v59, v35, v34, s52                              // 00000000918C: D1ED003B 00D24523
	ds_write_b64 v43, v[58:59] offset:3640                     // 000000009194: D89A0E38 00003A2B
	v_mov_b32_e32 v34, 0                                       // 00000000919C: 7E440280
	v_mov_b32_e32 v35, 4                                       // 0000000091A0: 7E460284
	s_mov_b32 s56, 0xffff0000                                  // 0000000091A4: BEB800FF FFFF0000
	s_mov_b32 s57, 0xffff0000                                  // 0000000091AC: BEB900FF FFFF0000
	v_cndmask_b32_e64 v36, v34, v35, s[56:57]                  // 0000000091B4: D1000024 00E24722
	v_and_b32_e32 v34, 3, v0                                   // 0000000091BC: 26440083
	v_add_u32_e32 v34, v34, v36                                // 0000000091C0: 68444922
	s_mov_b32 s56, 0x82                                        // 0000000091C4: BEB800FF 00000082
	v_mul_i32_i24_e32 v34, s56, v34                            // 0000000091CC: 0C444438
	v_and_b32_e32 v35, 15, v0                                  // 0000000091D0: 2646008F
	v_lshrrev_b32_e32 v35, 2, v35                              // 0000000091D4: 20464682
	s_mov_b32 s56, 32                                          // 0000000091D8: BEB800A0
	v_mul_i32_i24_e32 v35, s56, v35                            // 0000000091DC: 0C464638
	v_lshrrev_b32_e32 v36, 5, v0                               // 0000000091E0: 20480085
	v_lshlrev_b32_e32 v36, 1, v36                              // 0000000091E4: 24484881
	v_add_u32_e32 v43, v34, v35                                // 0000000091E8: 68564722
	v_add_u32_e32 v43, v43, v36                                // 0000000091EC: 6856492B
	s_mul_i32 s56, s7, 0x410                                   // 0000000091F0: 9238FF07 00000410
	v_add_u32_e32 v43, s56, v43                                // 0000000091F8: 68565638
	v_lshlrev_b32_e32 v43, 2, v43                              // 0000000091FC: 24565682
	s_waitcnt lgkmcnt(0)                                       // 000000009200: BF8CC07F
	ds_read_b64 v[122:123], v43                                // 000000009204: D8EC0000 7A00002B
	ds_read_b64 v[124:125], v43 offset:16                      // 00000000920C: D8EC0010 7C00002B
	ds_read_b64 v[126:127], v43 offset:32                      // 000000009214: D8EC0020 7E00002B
	ds_read_b64 v[128:129], v43 offset:48                      // 00000000921C: D8EC0030 8000002B
	ds_read_b64 v[130:131], v43 offset:64                      // 000000009224: D8EC0040 8200002B
	ds_read_b64 v[132:133], v43 offset:80                      // 00000000922C: D8EC0050 8400002B
	ds_read_b64 v[134:135], v43 offset:96                      // 000000009234: D8EC0060 8600002B
	ds_read_b64 v[136:137], v43 offset:112                     // 00000000923C: D8EC0070 8800002B
	v_mov_b32_e32 v19, v51                                     // 000000009244: 7E260333
	s_waitcnt lgkmcnt(7)                                       // 000000009248: BF8CC77F
	buffer_store_dwordx2 v[122:123], v19, s[88:91], 0 offen    // 00000000924C: E0741000 80167A13
	v_add_u32_e32 v19, 0x800, v19                              // 000000009254: 682626FF 00000800
	s_waitcnt lgkmcnt(6)                                       // 00000000925C: BF8CC67F
	buffer_store_dwordx2 v[124:125], v19, s[88:91], 0 offen    // 000000009260: E0741000 80167C13
	v_add_u32_e32 v19, 0x800, v19                              // 000000009268: 682626FF 00000800
	s_waitcnt lgkmcnt(5)                                       // 000000009270: BF8CC57F
	buffer_store_dwordx2 v[126:127], v19, s[88:91], 0 offen    // 000000009274: E0741000 80167E13
	v_add_u32_e32 v19, 0x800, v19                              // 00000000927C: 682626FF 00000800
	s_waitcnt lgkmcnt(4)                                       // 000000009284: BF8CC47F
	buffer_store_dwordx2 v[128:129], v19, s[88:91], 0 offen    // 000000009288: E0741000 80168013
	v_add_u32_e32 v19, 0x800, v19                              // 000000009290: 682626FF 00000800
	s_waitcnt lgkmcnt(3)                                       // 000000009298: BF8CC37F
	buffer_store_dwordx2 v[130:131], v19, s[88:91], 0 offen    // 00000000929C: E0741000 80168213
	v_add_u32_e32 v19, 0x800, v19                              // 0000000092A4: 682626FF 00000800
	s_waitcnt lgkmcnt(2)                                       // 0000000092AC: BF8CC27F
	buffer_store_dwordx2 v[132:133], v19, s[88:91], 0 offen    // 0000000092B0: E0741000 80168413
	v_add_u32_e32 v19, 0x800, v19                              // 0000000092B8: 682626FF 00000800
	s_waitcnt lgkmcnt(1)                                       // 0000000092C0: BF8CC17F
	buffer_store_dwordx2 v[134:135], v19, s[88:91], 0 offen    // 0000000092C4: E0741000 80168613
	v_add_u32_e32 v19, 0x800, v19                              // 0000000092CC: 682626FF 00000800
	s_waitcnt lgkmcnt(0)                                       // 0000000092D4: BF8CC07F
	buffer_store_dwordx2 v[136:137], v19, s[88:91], 0 offen    // 0000000092D8: E0741000 80168813
	v_add_u32_e32 v19, 0x800, v19                              // 0000000092E0: 682626FF 00000800
	s_branch label_1DD0                                        // 0000000092E8: BF820192

00000000000092ec <label_1C3E>:
	s_waitcnt lgkmcnt(0)                                       // 0000000092EC: BF8CC07F
	s_barrier                                                  // 0000000092F0: BF8A0000
	v_lshlrev_b32_e32 v43, 2, v0                               // 0000000092F4: 24560082
	s_mul_i32 s56, s7, 0x820                                   // 0000000092F8: 9238FF07 00000820
	v_add_u32_e32 v43, s56, v43                                // 000000009300: 68565638
	v_lshlrev_b32_e32 v43, 2, v43                              // 000000009304: 24565682
	v_mov_b32_e32 v34, v90                                     // 000000009308: 7E44035A
	v_mov_b32_e32 v35, v94                                     // 00000000930C: 7E46035E
	v_mov_b32_e32 v36, v98                                     // 000000009310: 7E480362
	v_mov_b32_e32 v37, v102                                    // 000000009314: 7E4A0366
	ds_write_b128 v43, v[34:37]                                // 000000009318: D9BE0000 0000222B
	v_mov_b32_e32 v34, v91                                     // 000000009320: 7E44035B
	v_mov_b32_e32 v35, v95                                     // 000000009324: 7E46035F
	v_mov_b32_e32 v36, v99                                     // 000000009328: 7E480363
	v_mov_b32_e32 v37, v103                                    // 00000000932C: 7E4A0367
	ds_write_b128 v43, v[34:37] offset:1040                    // 000000009330: D9BE0410 0000222B
	v_mov_b32_e32 v34, v92                                     // 000000009338: 7E44035C
	v_mov_b32_e32 v35, v96                                     // 00000000933C: 7E460360
	v_mov_b32_e32 v36, v100                                    // 000000009340: 7E480364
	v_mov_b32_e32 v37, v104                                    // 000000009344: 7E4A0368
	ds_write_b128 v43, v[34:37] offset:2080                    // 000000009348: D9BE0820 0000222B
	v_mov_b32_e32 v34, v93                                     // 000000009350: 7E44035D
	v_mov_b32_e32 v35, v97                                     // 000000009354: 7E460361
	v_mov_b32_e32 v36, v101                                    // 000000009358: 7E480365
	v_mov_b32_e32 v37, v105                                    // 00000000935C: 7E4A0369
	ds_write_b128 v43, v[34:37] offset:3120                    // 000000009360: D9BE0C30 0000222B
	v_mov_b32_e32 v34, v106                                    // 000000009368: 7E44036A
	v_mov_b32_e32 v35, v110                                    // 00000000936C: 7E46036E
	v_mov_b32_e32 v36, v114                                    // 000000009370: 7E480372
	v_mov_b32_e32 v37, v118                                    // 000000009374: 7E4A0376
	ds_write_b128 v43, v[34:37] offset:4160                    // 000000009378: D9BE1040 0000222B
	v_mov_b32_e32 v34, v107                                    // 000000009380: 7E44036B
	v_mov_b32_e32 v35, v111                                    // 000000009384: 7E46036F
	v_mov_b32_e32 v36, v115                                    // 000000009388: 7E480373
	v_mov_b32_e32 v37, v119                                    // 00000000938C: 7E4A0377
	ds_write_b128 v43, v[34:37] offset:5200                    // 000000009390: D9BE1450 0000222B
	v_mov_b32_e32 v34, v108                                    // 000000009398: 7E44036C
	v_mov_b32_e32 v35, v112                                    // 00000000939C: 7E460370
	v_mov_b32_e32 v36, v116                                    // 0000000093A0: 7E480374
	v_mov_b32_e32 v37, v120                                    // 0000000093A4: 7E4A0378
	ds_write_b128 v43, v[34:37] offset:6240                    // 0000000093A8: D9BE1860 0000222B
	v_mov_b32_e32 v34, v109                                    // 0000000093B0: 7E44036D
	v_mov_b32_e32 v35, v113                                    // 0000000093B4: 7E460371
	v_mov_b32_e32 v36, v117                                    // 0000000093B8: 7E480375
	v_mov_b32_e32 v37, v121                                    // 0000000093BC: 7E4A0379
	ds_write_b128 v43, v[34:37] offset:7280                    // 0000000093C0: D9BE1C70 0000222B
	v_mov_b32_e32 v34, 0                                       // 0000000093C8: 7E440280
	v_mov_b32_e32 v35, 4                                       // 0000000093CC: 7E460284
	s_mov_b32 s56, 0xffff0000                                  // 0000000093D0: BEB800FF FFFF0000
	s_mov_b32 s57, 0xffff0000                                  // 0000000093D8: BEB900FF FFFF0000
	v_cndmask_b32_e64 v36, v34, v35, s[56:57]                  // 0000000093E0: D1000024 00E24722
	v_and_b32_e32 v34, 3, v0                                   // 0000000093E8: 26440083
	v_add_u32_e32 v34, v34, v36                                // 0000000093EC: 68444922
	s_mov_b32 s56, 0x104                                       // 0000000093F0: BEB800FF 00000104
	v_mul_i32_i24_e32 v34, s56, v34                            // 0000000093F8: 0C444438
	v_and_b32_e32 v35, 15, v0                                  // 0000000093FC: 2646008F
	v_lshrrev_b32_e32 v35, 2, v35                              // 000000009400: 20464682
	s_mov_b32 s56, 64                                          // 000000009404: BEB800C0
	v_mul_i32_i24_e32 v35, s56, v35                            // 000000009408: 0C464638
	v_lshrrev_b32_e32 v36, 5, v0                               // 00000000940C: 20480085
	v_lshlrev_b32_e32 v36, 2, v36                              // 000000009410: 24484882
	v_add_u32_e32 v43, v34, v35                                // 000000009414: 68564722
	v_add_u32_e32 v43, v43, v36                                // 000000009418: 6856492B
	s_mul_i32 s56, s7, 0x820                                   // 00000000941C: 9238FF07 00000820
	v_add_u32_e32 v43, s56, v43                                // 000000009424: 68565638
	v_lshlrev_b32_e32 v43, 2, v43                              // 000000009428: 24565682
	s_waitcnt lgkmcnt(0)                                       // 00000000942C: BF8CC07F
	ds_read_b128 v[90:93], v43                                 // 000000009430: D9FE0000 5A00002B
	ds_read_b128 v[94:97], v43 offset:32                       // 000000009438: D9FE0020 5E00002B
	ds_read_b128 v[98:101], v43 offset:64                      // 000000009440: D9FE0040 6200002B
	ds_read_b128 v[102:105], v43 offset:96                     // 000000009448: D9FE0060 6600002B
	ds_read_b128 v[106:109], v43 offset:128                    // 000000009450: D9FE0080 6A00002B
	ds_read_b128 v[110:113], v43 offset:160                    // 000000009458: D9FE00A0 6E00002B
	ds_read_b128 v[114:117], v43 offset:192                    // 000000009460: D9FE00C0 7200002B
	ds_read_b128 v[118:121], v43 offset:224                    // 000000009468: D9FE00E0 7600002B
	s_mul_i32 s75, 0x800, 16                                   // 000000009470: 924B90FF 00000800
	s_mul_i32 s56, s87, s75                                    // 000000009478: 92384B57
	s_add_u32 s8, s56, s8                                      // 00000000947C: 80080838
	s_addc_u32 s9, 0, s9                                       // 000000009480: 82090980
	s_mul_i32 s56, s81, s75                                    // 000000009484: 92384B51
	s_mov_b32 s10, s56                                         // 000000009488: BE8A0038
	s_mul_i32 s56, s7, 0x200                                   // 00000000948C: 9238FF07 00000200
	v_lshrrev_b32_e32 v34, 5, v0                               // 000000009494: 20440085
	s_mov_b32 s57, 0x800                                       // 000000009498: BEB900FF 00000800
	v_mul_i32_i24_e32 v34, s57, v34                            // 0000000094A0: 0C444439
	v_and_b32_e32 v19, 31, v0                                  // 0000000094A4: 2626009F
	v_lshlrev_b32_e32 v19, 4, v19                              // 0000000094A8: 24262684
	v_add_u32_e32 v19, v19, v34                                // 0000000094AC: 68264513
	v_add_u32_e64 v19, v19, s56                                // 0000000094B0: D1340013 00007113
	v_mov_b32_e32 v51, v19                                     // 0000000094B8: 7E660313
	v_mov_b32_e32 v19, v51                                     // 0000000094BC: 7E260333
	s_waitcnt lgkmcnt(7)                                       // 0000000094C0: BF8CC77F
	buffer_store_dwordx4 v[90:93], v19, s[8:11], 0 offen       // 0000000094C4: E07C1000 80025A13
	v_add_u32_e32 v19, 0x1000, v19                             // 0000000094CC: 682626FF 00001000
	s_waitcnt lgkmcnt(6)                                       // 0000000094D4: BF8CC67F
	buffer_store_dwordx4 v[94:97], v19, s[8:11], 0 offen       // 0000000094D8: E07C1000 80025E13
	v_add_u32_e32 v19, 0x1000, v19                             // 0000000094E0: 682626FF 00001000
	s_waitcnt lgkmcnt(5)                                       // 0000000094E8: BF8CC57F
	buffer_store_dwordx4 v[98:101], v19, s[8:11], 0 offen      // 0000000094EC: E07C1000 80026213
	v_add_u32_e32 v19, 0x1000, v19                             // 0000000094F4: 682626FF 00001000
	s_waitcnt lgkmcnt(4)                                       // 0000000094FC: BF8CC47F
	buffer_store_dwordx4 v[102:105], v19, s[8:11], 0 offen     // 000000009500: E07C1000 80026613
	v_add_u32_e32 v19, 0x1000, v19                             // 000000009508: 682626FF 00001000
	s_waitcnt lgkmcnt(3)                                       // 000000009510: BF8CC37F
	buffer_store_dwordx4 v[106:109], v19, s[8:11], 0 offen     // 000000009514: E07C1000 80026A13
	v_add_u32_e32 v19, 0x1000, v19                             // 00000000951C: 682626FF 00001000
	s_waitcnt lgkmcnt(2)                                       // 000000009524: BF8CC27F
	buffer_store_dwordx4 v[110:113], v19, s[8:11], 0 offen     // 000000009528: E07C1000 80026E13
	v_add_u32_e32 v19, 0x1000, v19                             // 000000009530: 682626FF 00001000
	s_waitcnt lgkmcnt(1)                                       // 000000009538: BF8CC17F
	buffer_store_dwordx4 v[114:117], v19, s[8:11], 0 offen     // 00000000953C: E07C1000 80027213
	v_add_u32_e32 v19, 0x1000, v19                             // 000000009544: 682626FF 00001000
	s_waitcnt lgkmcnt(0)                                       // 00000000954C: BF8CC07F
	buffer_store_dwordx4 v[118:121], v19, s[8:11], 0 offen     // 000000009550: E07C1000 80027613
	v_add_u32_e32 v19, 0x1000, v19                             // 000000009558: 682626FF 00001000
	s_mov_b32 s56, s75                                         // 000000009560: BEB8004B
	s_add_u32 s8, s56, s8                                      // 000000009564: 80080838
	s_addc_u32 s9, 0, s9                                       // 000000009568: 82090980
	v_mov_b32_e32 v34, v44                                     // 00000000956C: 7E44032C
	buffer_store_dword v44, v18, s[12:15], 0 offen             // 000000009570: E0701000 80032C12
	ds_write_b32 v5, v16 offset:21120                          // 000000009578: D81A5280 00001005
	s_waitcnt lgkmcnt(0)                                       // 000000009580: BF8CC07F
	s_barrier                                                  // 000000009584: BF8A0000
	ds_read_b32 v58, v4 offset:21120                           // 000000009588: D86C5280 3A000004
	ds_read_b32 v59, v4 offset:21184                           // 000000009590: D86C52C0 3B000004
	ds_read_b32 v60, v4 offset:21248                           // 000000009598: D86C5300 3C000004
	ds_read_b32 v61, v4 offset:21312                           // 0000000095A0: D86C5340 3D000004
	ds_read_b32 v62, v4 offset:21376                           // 0000000095A8: D86C5380 3E000004
	ds_read_b32 v63, v4 offset:21440                           // 0000000095B0: D86C53C0 3F000004
	ds_read_b32 v64, v4 offset:21504                           // 0000000095B8: D86C5400 40000004
	ds_read_b32 v65, v4 offset:21568                           // 0000000095C0: D86C5440 41000004
	ds_read_b32 v66, v4 offset:21632                           // 0000000095C8: D86C5480 42000004
	ds_read_b32 v67, v4 offset:21696                           // 0000000095D0: D86C54C0 43000004
	ds_read_b32 v68, v4 offset:21760                           // 0000000095D8: D86C5500 44000004
	ds_read_b32 v69, v4 offset:21824                           // 0000000095E0: D86C5540 45000004
	ds_read_b32 v70, v4 offset:21888                           // 0000000095E8: D86C5580 46000004
	ds_read_b32 v71, v4 offset:21952                           // 0000000095F0: D86C55C0 47000004
	ds_read_b32 v72, v4 offset:22016                           // 0000000095F8: D86C5600 48000004
	ds_read_b32 v73, v4 offset:22080                           // 000000009600: D86C5640 49000004
	s_waitcnt lgkmcnt(0)                                       // 000000009608: BF8CC07F
	v_mov_b32_e32 v16, 0                                       // 00000000960C: 7E200280
	v_add_f32_e32 v16, v58, v16                                // 000000009610: 0220213A
	v_add_f32_e32 v16, v59, v16                                // 000000009614: 0220213B
	v_add_f32_e32 v16, v60, v16                                // 000000009618: 0220213C
	v_add_f32_e32 v16, v61, v16                                // 00000000961C: 0220213D
	v_add_f32_e32 v16, v62, v16                                // 000000009620: 0220213E
	v_add_f32_e32 v16, v63, v16                                // 000000009624: 0220213F
	v_add_f32_e32 v16, v64, v16                                // 000000009628: 02202140
	v_add_f32_e32 v16, v65, v16                                // 00000000962C: 02202141
	v_add_f32_e32 v16, v66, v16                                // 000000009630: 02202142
	v_add_f32_e32 v16, v67, v16                                // 000000009634: 02202143
	v_add_f32_e32 v16, v68, v16                                // 000000009638: 02202144
	v_add_f32_e32 v16, v69, v16                                // 00000000963C: 02202145
	v_add_f32_e32 v16, v70, v16                                // 000000009640: 02202146
	v_add_f32_e32 v16, v71, v16                                // 000000009644: 02202147
	;; [unrolled: 1-line block ×3, first 2 shown]
	v_add_f32_e32 v16, v73, v16                                // 00000000964C: 02202149
	v_mul_f32_e64 v34, v13, s64                                // 000000009650: D1050022 0000810D
	v_log_f32_e32 v35, v16                                     // 000000009658: 7E464310
	s_nop 1                                                    // 00000000965C: BF800001
	v_rcp_f32_e32 v16, v16                                     // 000000009660: 7E204510
	s_nop 1                                                    // 000000009664: BF800001
	v_fma_f32 v45, v35, s63, v34                               // 000000009668: D1CB002D 04887F23
	v_mul_f32_e32 v16, s43, v16                                // 000000009670: 0A20202B
	v_mul_f32_e32 v122, v16, v122                              // 000000009674: 0AF4F510
	v_mul_f32_e32 v123, v16, v123                              // 000000009678: 0AF6F710
	v_mul_f32_e32 v124, v16, v124                              // 00000000967C: 0AF8F910
	v_mul_f32_e32 v125, v16, v125                              // 000000009680: 0AFAFB10
	v_mul_f32_e32 v126, v16, v126                              // 000000009684: 0AFCFD10
	v_mul_f32_e32 v127, v16, v127                              // 000000009688: 0AFEFF10
	v_mul_f32_e32 v128, v16, v128                              // 00000000968C: 0B010110
	v_mul_f32_e32 v129, v16, v129                              // 000000009690: 0B030310
	v_mul_f32_e32 v130, v16, v130                              // 000000009694: 0B050510
	v_mul_f32_e32 v131, v16, v131                              // 000000009698: 0B070710
	v_mul_f32_e32 v132, v16, v132                              // 00000000969C: 0B090910
	v_mul_f32_e32 v133, v16, v133                              // 0000000096A0: 0B0B0B10
	v_mul_f32_e32 v134, v16, v134                              // 0000000096A4: 0B0D0D10
	v_mul_f32_e32 v135, v16, v135                              // 0000000096A8: 0B0F0F10
	v_mul_f32_e32 v136, v16, v136                              // 0000000096AC: 0B111110
	v_mul_f32_e32 v137, v16, v137                              // 0000000096B0: 0B131310
	v_mul_f32_e32 v138, v16, v138                              // 0000000096B4: 0B151510
	v_mul_f32_e32 v139, v16, v139                              // 0000000096B8: 0B171710
	v_mul_f32_e32 v140, v16, v140                              // 0000000096BC: 0B191910
	v_mul_f32_e32 v141, v16, v141                              // 0000000096C0: 0B1B1B10
	v_mul_f32_e32 v142, v16, v142                              // 0000000096C4: 0B1D1D10
	v_mul_f32_e32 v143, v16, v143                              // 0000000096C8: 0B1F1F10
	v_mul_f32_e32 v144, v16, v144                              // 0000000096CC: 0B212110
	v_mul_f32_e32 v145, v16, v145                              // 0000000096D0: 0B232310
	v_mul_f32_e32 v146, v16, v146                              // 0000000096D4: 0B252510
	v_mul_f32_e32 v147, v16, v147                              // 0000000096D8: 0B272710
	v_mul_f32_e32 v148, v16, v148                              // 0000000096DC: 0B292910
	v_mul_f32_e32 v149, v16, v149                              // 0000000096E0: 0B2B2B10
	v_mul_f32_e32 v150, v16, v150                              // 0000000096E4: 0B2D2D10
	v_mul_f32_e32 v151, v16, v151                              // 0000000096E8: 0B2F2F10
	v_mul_f32_e32 v152, v16, v152                              // 0000000096EC: 0B313110
	v_mul_f32_e32 v153, v16, v153                              // 0000000096F0: 0B333310
	s_waitcnt lgkmcnt(0)                                       // 0000000096F4: BF8CC07F
	s_barrier                                                  // 0000000096F8: BF8A0000
	v_lshlrev_b32_e32 v43, 2, v0                               // 0000000096FC: 24560082
	s_mul_i32 s56, s7, 0x820                                   // 000000009700: 9238FF07 00000820
	v_add_u32_e32 v43, s56, v43                                // 000000009708: 68565638
	v_lshlrev_b32_e32 v43, 2, v43                              // 00000000970C: 24565682
	v_mov_b32_e32 v34, v122                                    // 000000009710: 7E44037A
	v_mov_b32_e32 v35, v126                                    // 000000009714: 7E46037E
	v_mov_b32_e32 v36, v130                                    // 000000009718: 7E480382
	v_mov_b32_e32 v37, v134                                    // 00000000971C: 7E4A0386
	ds_write_b128 v43, v[34:37]                                // 000000009720: D9BE0000 0000222B
	v_mov_b32_e32 v34, v123                                    // 000000009728: 7E44037B
	v_mov_b32_e32 v35, v127                                    // 00000000972C: 7E46037F
	v_mov_b32_e32 v36, v131                                    // 000000009730: 7E480383
	v_mov_b32_e32 v37, v135                                    // 000000009734: 7E4A0387
	ds_write_b128 v43, v[34:37] offset:1040                    // 000000009738: D9BE0410 0000222B
	v_mov_b32_e32 v34, v124                                    // 000000009740: 7E44037C
	v_mov_b32_e32 v35, v128                                    // 000000009744: 7E460380
	v_mov_b32_e32 v36, v132                                    // 000000009748: 7E480384
	v_mov_b32_e32 v37, v136                                    // 00000000974C: 7E4A0388
	ds_write_b128 v43, v[34:37] offset:2080                    // 000000009750: D9BE0820 0000222B
	v_mov_b32_e32 v34, v125                                    // 000000009758: 7E44037D
	v_mov_b32_e32 v35, v129                                    // 00000000975C: 7E460381
	v_mov_b32_e32 v36, v133                                    // 000000009760: 7E480385
	v_mov_b32_e32 v37, v137                                    // 000000009764: 7E4A0389
	ds_write_b128 v43, v[34:37] offset:3120                    // 000000009768: D9BE0C30 0000222B
	v_mov_b32_e32 v34, v138                                    // 000000009770: 7E44038A
	v_mov_b32_e32 v35, v142                                    // 000000009774: 7E46038E
	v_mov_b32_e32 v36, v146                                    // 000000009778: 7E480392
	v_mov_b32_e32 v37, v150                                    // 00000000977C: 7E4A0396
	ds_write_b128 v43, v[34:37] offset:4160                    // 000000009780: D9BE1040 0000222B
	v_mov_b32_e32 v34, v139                                    // 000000009788: 7E44038B
	v_mov_b32_e32 v35, v143                                    // 00000000978C: 7E46038F
	v_mov_b32_e32 v36, v147                                    // 000000009790: 7E480393
	v_mov_b32_e32 v37, v151                                    // 000000009794: 7E4A0397
	ds_write_b128 v43, v[34:37] offset:5200                    // 000000009798: D9BE1450 0000222B
	v_mov_b32_e32 v34, v140                                    // 0000000097A0: 7E44038C
	v_mov_b32_e32 v35, v144                                    // 0000000097A4: 7E460390
	v_mov_b32_e32 v36, v148                                    // 0000000097A8: 7E480394
	v_mov_b32_e32 v37, v152                                    // 0000000097AC: 7E4A0398
	ds_write_b128 v43, v[34:37] offset:6240                    // 0000000097B0: D9BE1860 0000222B
	v_mov_b32_e32 v34, v141                                    // 0000000097B8: 7E44038D
	v_mov_b32_e32 v35, v145                                    // 0000000097BC: 7E460391
	v_mov_b32_e32 v36, v149                                    // 0000000097C0: 7E480395
	v_mov_b32_e32 v37, v153                                    // 0000000097C4: 7E4A0399
	ds_write_b128 v43, v[34:37] offset:7280                    // 0000000097C8: D9BE1C70 0000222B
	v_mov_b32_e32 v34, 0                                       // 0000000097D0: 7E440280
	v_mov_b32_e32 v35, 4                                       // 0000000097D4: 7E460284
	s_mov_b32 s56, 0xffff0000                                  // 0000000097D8: BEB800FF FFFF0000
	s_mov_b32 s57, 0xffff0000                                  // 0000000097E0: BEB900FF FFFF0000
	v_cndmask_b32_e64 v36, v34, v35, s[56:57]                  // 0000000097E8: D1000024 00E24722
	v_and_b32_e32 v34, 3, v0                                   // 0000000097F0: 26440083
	v_add_u32_e32 v34, v34, v36                                // 0000000097F4: 68444922
	s_mov_b32 s56, 0x104                                       // 0000000097F8: BEB800FF 00000104
	v_mul_i32_i24_e32 v34, s56, v34                            // 000000009800: 0C444438
	v_and_b32_e32 v35, 15, v0                                  // 000000009804: 2646008F
	v_lshrrev_b32_e32 v35, 2, v35                              // 000000009808: 20464682
	s_mov_b32 s56, 64                                          // 00000000980C: BEB800C0
	v_mul_i32_i24_e32 v35, s56, v35                            // 000000009810: 0C464638
	v_lshrrev_b32_e32 v36, 5, v0                               // 000000009814: 20480085
	v_lshlrev_b32_e32 v36, 2, v36                              // 000000009818: 24484882
	v_add_u32_e32 v43, v34, v35                                // 00000000981C: 68564722
	v_add_u32_e32 v43, v43, v36                                // 000000009820: 6856492B
	s_mul_i32 s56, s7, 0x820                                   // 000000009824: 9238FF07 00000820
	v_add_u32_e32 v43, s56, v43                                // 00000000982C: 68565638
	v_lshlrev_b32_e32 v43, 2, v43                              // 000000009830: 24565682
	s_waitcnt lgkmcnt(0)                                       // 000000009834: BF8CC07F
	ds_read_b128 v[122:125], v43                               // 000000009838: D9FE0000 7A00002B
	ds_read_b128 v[126:129], v43 offset:32                     // 000000009840: D9FE0020 7E00002B
	ds_read_b128 v[130:133], v43 offset:64                     // 000000009848: D9FE0040 8200002B
	ds_read_b128 v[134:137], v43 offset:96                     // 000000009850: D9FE0060 8600002B
	ds_read_b128 v[138:141], v43 offset:128                    // 000000009858: D9FE0080 8A00002B
	ds_read_b128 v[142:145], v43 offset:160                    // 000000009860: D9FE00A0 8E00002B
	ds_read_b128 v[146:149], v43 offset:192                    // 000000009868: D9FE00C0 9200002B
	ds_read_b128 v[150:153], v43 offset:224                    // 000000009870: D9FE00E0 9600002B
	v_mov_b32_e32 v19, v51                                     // 000000009878: 7E260333
	s_waitcnt lgkmcnt(7)                                       // 00000000987C: BF8CC77F
	buffer_store_dwordx4 v[122:125], v19, s[8:11], 0 offen     // 000000009880: E07C1000 80027A13
	v_add_u32_e32 v19, 0x1000, v19                             // 000000009888: 682626FF 00001000
	s_waitcnt lgkmcnt(6)                                       // 000000009890: BF8CC67F
	buffer_store_dwordx4 v[126:129], v19, s[8:11], 0 offen     // 000000009894: E07C1000 80027E13
	v_add_u32_e32 v19, 0x1000, v19                             // 00000000989C: 682626FF 00001000
	s_waitcnt lgkmcnt(5)                                       // 0000000098A4: BF8CC57F
	buffer_store_dwordx4 v[130:133], v19, s[8:11], 0 offen     // 0000000098A8: E07C1000 80028213
	v_add_u32_e32 v19, 0x1000, v19                             // 0000000098B0: 682626FF 00001000
	s_waitcnt lgkmcnt(4)                                       // 0000000098B8: BF8CC47F
	buffer_store_dwordx4 v[134:137], v19, s[8:11], 0 offen     // 0000000098BC: E07C1000 80028613
	v_add_u32_e32 v19, 0x1000, v19                             // 0000000098C4: 682626FF 00001000
	s_waitcnt lgkmcnt(3)                                       // 0000000098CC: BF8CC37F
	buffer_store_dwordx4 v[138:141], v19, s[8:11], 0 offen     // 0000000098D0: E07C1000 80028A13
	v_add_u32_e32 v19, 0x1000, v19                             // 0000000098D8: 682626FF 00001000
	s_waitcnt lgkmcnt(2)                                       // 0000000098E0: BF8CC27F
	buffer_store_dwordx4 v[142:145], v19, s[8:11], 0 offen     // 0000000098E4: E07C1000 80028E13
	v_add_u32_e32 v19, 0x1000, v19                             // 0000000098EC: 682626FF 00001000
	s_waitcnt lgkmcnt(1)                                       // 0000000098F4: BF8CC17F
	buffer_store_dwordx4 v[146:149], v19, s[8:11], 0 offen     // 0000000098F8: E07C1000 80029213
	v_add_u32_e32 v19, 0x1000, v19                             // 000000009900: 682626FF 00001000
	s_waitcnt lgkmcnt(0)                                       // 000000009908: BF8CC07F
	buffer_store_dwordx4 v[150:153], v19, s[8:11], 0 offen     // 00000000990C: E07C1000 80029613
	v_add_u32_e32 v19, 0x1000, v19                             // 000000009914: 682626FF 00001000
	s_mov_b32 s56, 64                                          // 00000000991C: BEB800C0
	s_add_u32 s12, s56, s12                                    // 000000009920: 800C0C38
	s_addc_u32 s13, 0, s13                                     // 000000009924: 820D0D80
	v_mov_b32_e32 v34, v45                                     // 000000009928: 7E44032D
	buffer_store_dword v45, v18, s[12:15], 0 offen             // 00000000992C: E0701000 80032D12

0000000000009934 <label_1DD0>:
	s_mov_b32 s56, 32                                          // 000000009934: BEB800A0
	s_addk_i32 s85, 0x1                                        // 000000009938: B7550001
	s_cmp_lt_i32 s85, s86                                      // 00000000993C: BF045655
	s_cbranch_scc1 label_0029                                  // 000000009940: BF85E298

0000000000009944 <label_1DD4>:
	s_waitcnt vmcnt(0) expcnt(0) lgkmcnt(0)                    // 000000009944: BF8C0000
	s_endpgm                                                   // 000000009948: BF810000
